;; amdgpu-corpus repo=ROCm/rocFFT kind=compiled arch=gfx906 opt=O3
	.text
	.amdgcn_target "amdgcn-amd-amdhsa--gfx906"
	.amdhsa_code_object_version 6
	.protected	bluestein_single_fwd_len352_dim1_half_op_CI_CI ; -- Begin function bluestein_single_fwd_len352_dim1_half_op_CI_CI
	.globl	bluestein_single_fwd_len352_dim1_half_op_CI_CI
	.p2align	8
	.type	bluestein_single_fwd_len352_dim1_half_op_CI_CI,@function
bluestein_single_fwd_len352_dim1_half_op_CI_CI: ; @bluestein_single_fwd_len352_dim1_half_op_CI_CI
; %bb.0:
	s_load_dwordx4 s[12:15], s[4:5], 0x28
	v_lshrrev_b32_e32 v1, 5, v0
	v_lshl_or_b32 v15, s6, 1, v1
	v_mov_b32_e32 v1, 0
	v_mov_b32_e32 v16, v1
	s_waitcnt lgkmcnt(0)
	v_cmp_gt_u64_e32 vcc, s[12:13], v[15:16]
	s_and_saveexec_b64 s[0:1], vcc
	s_cbranch_execz .LBB0_18
; %bb.1:
	s_load_dwordx4 s[0:3], s[4:5], 0x18
	s_load_dwordx4 s[8:11], s[4:5], 0x0
	v_and_b32_e32 v42, 31, v0
	v_lshlrev_b32_e32 v46, 2, v42
	v_and_b32_e32 v0, 32, v0
	s_waitcnt lgkmcnt(0)
	s_load_dwordx4 s[16:19], s[0:1], 0x0
	global_load_dword v44, v46, s[8:9]
	s_load_dwordx2 s[12:13], s[4:5], 0x38
	s_mov_b32 s20, 0xb93db08e
	s_waitcnt lgkmcnt(0)
	v_mad_u64_u32 v[2:3], s[0:1], s18, v15, 0
	v_mad_u64_u32 v[4:5], s[0:1], s16, v42, 0
	s_movk_i32 s18, 0x3beb
	v_mad_u64_u32 v[6:7], s[0:1], s19, v15, v[3:4]
	s_mov_b32 s19, 0xb853
	v_mad_u64_u32 v[7:8], s[0:1], s17, v42, v[5:6]
	v_mov_b32_e32 v3, v6
	v_lshlrev_b64 v[2:3], 2, v[2:3]
	v_mov_b32_e32 v5, v7
	v_mov_b32_e32 v8, s15
	v_lshlrev_b64 v[4:5], 2, v[4:5]
	v_add_co_u32_e32 v2, vcc, s14, v2
	v_addc_co_u32_e32 v3, vcc, v8, v3, vcc
	v_add_co_u32_e32 v2, vcc, v2, v4
	v_addc_co_u32_e32 v3, vcc, v3, v5, vcc
	global_load_dword v4, v[2:3], off
	s_lshl_b64 s[0:1], s[16:17], 7
	v_mov_b32_e32 v5, s1
	v_add_co_u32_e32 v2, vcc, s0, v2
	v_addc_co_u32_e32 v3, vcc, v3, v5, vcc
	global_load_dword v6, v[2:3], off
	global_load_dword v43, v46, s[8:9] offset:128
	v_add_co_u32_e32 v2, vcc, s0, v2
	v_addc_co_u32_e32 v3, vcc, v3, v5, vcc
	global_load_dword v7, v[2:3], off
	global_load_dword v41, v46, s[8:9] offset:256
	;; [unrolled: 4-line block ×10, first 2 shown]
	v_mov_b32_e32 v2, 0x160
	v_cmp_ne_u32_e32 vcc, 0, v0
	v_cndmask_b32_e32 v48, 0, v2, vcc
	v_or_b32_e32 v0, v48, v42
	v_lshlrev_b32_e32 v45, 2, v0
	v_lshl_or_b32 v36, v48, 2, v46
	s_load_dwordx4 s[4:7], s[2:3], 0x0
	s_movk_i32 s3, 0x36a6
	s_mov_b32 s14, 0xb08e
	s_mov_b32 s16, 0xb93d
	s_movk_i32 s2, 0x3abb
	s_mov_b32 s17, 0xbb47
	s_mov_b32 s0, 0x3abb36a6
	;; [unrolled: 1-line block ×4, first 2 shown]
	s_waitcnt vmcnt(20)
	v_lshrrev_b32_e32 v0, 16, v4
	v_mul_f16_sdwa v2, v44, v4 dst_sel:DWORD dst_unused:UNUSED_PAD src0_sel:WORD_1 src1_sel:DWORD
	v_mul_f16_sdwa v3, v44, v0 dst_sel:DWORD dst_unused:UNUSED_PAD src0_sel:WORD_1 src1_sel:DWORD
	v_fma_f16 v0, v44, v0, -v2
	v_fma_f16 v3, v44, v4, v3
	v_pack_b32_f16 v0, v3, v0
	s_waitcnt vmcnt(19)
	v_lshrrev_b32_e32 v2, 16, v6
	s_waitcnt vmcnt(18)
	v_mul_f16_sdwa v4, v43, v2 dst_sel:DWORD dst_unused:UNUSED_PAD src0_sel:WORD_1 src1_sel:DWORD
	v_mul_f16_sdwa v3, v43, v6 dst_sel:DWORD dst_unused:UNUSED_PAD src0_sel:WORD_1 src1_sel:DWORD
	ds_write_b32 v45, v0
	v_fma_f16 v0, v43, v6, v4
	v_fma_f16 v2, v43, v2, -v3
	v_pack_b32_f16 v0, v0, v2
	s_waitcnt vmcnt(17)
	v_lshrrev_b32_e32 v2, 16, v7
	s_waitcnt vmcnt(16)
	v_mul_f16_sdwa v3, v41, v2 dst_sel:DWORD dst_unused:UNUSED_PAD src0_sel:WORD_1 src1_sel:DWORD
	v_mul_f16_sdwa v4, v41, v7 dst_sel:DWORD dst_unused:UNUSED_PAD src0_sel:WORD_1 src1_sel:DWORD
	v_fma_f16 v3, v41, v7, v3
	v_fma_f16 v2, v41, v2, -v4
	v_pack_b32_f16 v2, v3, v2
	ds_write2_b32 v36, v0, v2 offset0:32 offset1:64
	s_waitcnt vmcnt(15)
	v_lshrrev_b32_e32 v0, 16, v8
	s_waitcnt vmcnt(14)
	v_mul_f16_sdwa v2, v40, v0 dst_sel:DWORD dst_unused:UNUSED_PAD src0_sel:WORD_1 src1_sel:DWORD
	v_mul_f16_sdwa v3, v40, v8 dst_sel:DWORD dst_unused:UNUSED_PAD src0_sel:WORD_1 src1_sel:DWORD
	v_fma_f16 v2, v40, v8, v2
	v_fma_f16 v0, v40, v0, -v3
	v_pack_b32_f16 v0, v2, v0
	s_waitcnt vmcnt(13)
	v_lshrrev_b32_e32 v2, 16, v9
	s_waitcnt vmcnt(12)
	v_mul_f16_sdwa v3, v39, v2 dst_sel:DWORD dst_unused:UNUSED_PAD src0_sel:WORD_1 src1_sel:DWORD
	v_mul_f16_sdwa v4, v39, v9 dst_sel:DWORD dst_unused:UNUSED_PAD src0_sel:WORD_1 src1_sel:DWORD
	v_fma_f16 v3, v39, v9, v3
	v_fma_f16 v2, v39, v2, -v4
	v_pack_b32_f16 v2, v3, v2
	ds_write2_b32 v36, v0, v2 offset0:96 offset1:128
	s_waitcnt vmcnt(11)
	v_lshrrev_b32_e32 v2, 16, v10
	s_waitcnt vmcnt(10)
	v_mul_f16_sdwa v3, v38, v2 dst_sel:DWORD dst_unused:UNUSED_PAD src0_sel:WORD_1 src1_sel:DWORD
	v_mul_f16_sdwa v4, v38, v10 dst_sel:DWORD dst_unused:UNUSED_PAD src0_sel:WORD_1 src1_sel:DWORD
	;; [unrolled: 17-line block ×3, first 2 shown]
	v_fma_f16 v3, v35, v12, v3
	v_fma_f16 v2, v35, v2, -v4
	v_pack_b32_f16 v2, v3, v2
	s_waitcnt vmcnt(5)
	v_lshrrev_b32_e32 v3, 16, v13
	s_waitcnt vmcnt(4)
	v_mul_f16_sdwa v4, v34, v3 dst_sel:DWORD dst_unused:UNUSED_PAD src0_sel:WORD_1 src1_sel:DWORD
	v_mul_f16_sdwa v6, v34, v13 dst_sel:DWORD dst_unused:UNUSED_PAD src0_sel:WORD_1 src1_sel:DWORD
	v_fma_f16 v4, v34, v13, v4
	v_fma_f16 v3, v34, v3, -v6
	v_pack_b32_f16 v4, v4, v3
	v_add_u32_e32 v3, 0x200, v36
	ds_write2_b32 v3, v2, v4 offset0:96 offset1:128
	s_waitcnt vmcnt(3)
	v_lshrrev_b32_e32 v2, 16, v14
	s_waitcnt vmcnt(2)
	v_mul_f16_sdwa v4, v33, v2 dst_sel:DWORD dst_unused:UNUSED_PAD src0_sel:WORD_1 src1_sel:DWORD
	v_mul_f16_sdwa v6, v33, v14 dst_sel:DWORD dst_unused:UNUSED_PAD src0_sel:WORD_1 src1_sel:DWORD
	v_fma_f16 v4, v33, v14, v4
	v_fma_f16 v2, v33, v2, -v6
	v_pack_b32_f16 v2, v4, v2
	s_waitcnt vmcnt(1)
	v_lshrrev_b32_e32 v4, 16, v5
	s_waitcnt vmcnt(0)
	v_mul_f16_sdwa v6, v32, v4 dst_sel:DWORD dst_unused:UNUSED_PAD src0_sel:WORD_1 src1_sel:DWORD
	v_fma_f16 v6, v32, v5, v6
	v_mul_f16_sdwa v5, v32, v5 dst_sel:DWORD dst_unused:UNUSED_PAD src0_sel:WORD_1 src1_sel:DWORD
	v_fma_f16 v4, v32, v4, -v5
	v_pack_b32_f16 v4, v6, v4
	v_add_u32_e32 v6, 0x400, v36
	ds_write2_b32 v6, v2, v4 offset0:32 offset1:64
	s_waitcnt lgkmcnt(0)
	; wave barrier
	s_waitcnt lgkmcnt(0)
	v_mul_u32_u24_e32 v2, 11, v42
	ds_read_b32 v5, v45
	ds_read2_b32 v[8:9], v36 offset0:32 offset1:64
	ds_read2_b32 v[10:11], v36 offset0:96 offset1:128
	;; [unrolled: 1-line block ×5, first 2 shown]
	v_add_lshl_u32 v47, v48, v2, 2
	s_waitcnt lgkmcnt(4)
	v_pk_add_f16 v2, v5, v8
	v_pk_add_f16 v2, v2, v9
	s_waitcnt lgkmcnt(3)
	v_pk_add_f16 v2, v2, v10
	v_pk_add_f16 v2, v2, v11
	;; [unrolled: 3-line block ×4, first 2 shown]
	s_waitcnt lgkmcnt(0)
	v_pk_add_f16 v7, v19, v8
	v_pk_add_f16 v6, v8, v19 neg_lo:[0,1] neg_hi:[0,1]
	v_pk_add_f16 v2, v2, v18
	v_lshrrev_b32_e32 v22, 16, v7
	v_mul_f16_e32 v23, 0xbb47, v6
	v_mul_f16_e32 v27, 0xbbeb, v6
	;; [unrolled: 1-line block ×3, first 2 shown]
	v_pk_add_f16 v4, v2, v19
	v_mul_f16_sdwa v2, v6, s19 dst_sel:DWORD dst_unused:UNUSED_PAD src0_sel:WORD_1 src1_sel:DWORD
	v_fma_f16 v24, v22, s3, v23
	v_fma_f16 v23, v22, s3, -v23
	v_fma_f16 v28, v22, s14, v27
	v_fma_f16 v27, v22, s14, -v27
	;; [unrolled: 2-line block ×3, first 2 shown]
	v_pk_add_f16 v31, v18, v9
	v_pk_add_f16 v9, v9, v18 neg_lo:[0,1] neg_hi:[0,1]
	v_fma_f16 v8, v7, s2, -v2
	v_fma_f16 v2, v7, s2, v2
	v_mul_f16_sdwa v18, v9, s17 dst_sel:DWORD dst_unused:UNUSED_PAD src0_sel:WORD_1 src1_sel:DWORD
	v_add_f16_e32 v2, v5, v2
	v_pk_mul_f16 v19, v7, s0
	s_mov_b32 s0, 0xbb47b853
	v_fma_f16 v50, v31, s3, -v18
	v_fma_f16 v18, v31, s3, v18
	s_mov_b32 s17, 0x36a6b93d
	v_add_f16_e32 v14, v5, v8
	v_pk_fma_f16 v20, v6, s0, v19 op_sel:[0,0,1] op_sel_hi:[1,1,0] neg_lo:[1,0,0] neg_hi:[1,0,0]
	v_alignbit_b32 v8, s0, v5, 16
	v_pk_fma_f16 v19, v6, s0, v19 op_sel:[0,0,1] op_sel_hi:[1,1,0]
	s_mov_b32 s0, 0xffff
	v_add_f16_e32 v2, v18, v2
	v_pk_mul_f16 v18, v31, s17
	s_mov_b32 s17, 0xba0cbb47
	v_bfi_b32 v21, s0, v19, v20
	v_add_f16_e32 v14, v50, v14
	v_pk_fma_f16 v50, v9, s17, v18 op_sel:[0,0,1] op_sel_hi:[1,1,0] neg_lo:[1,0,0] neg_hi:[1,0,0]
	v_pk_fma_f16 v18, v9, s17, v18 op_sel:[0,0,1] op_sel_hi:[1,1,0]
	v_pk_add_f16 v21, v5, v21 op_sel:[1,0] op_sel_hi:[0,1]
	v_alignbit_b32 v19, s0, v19, 16
	v_bfi_b32 v51, s0, v18, v50
	v_pk_add_f16 v19, v5, v19
	v_pk_add_f16 v21, v51, v21
	v_lshrrev_b32_e32 v51, 16, v31
	v_mul_f16_e32 v52, 0xba0c, v9
	v_alignbit_b32 v18, s0, v18, 16
	v_add_f16_sdwa v23, v5, v23 dst_sel:DWORD dst_unused:UNUSED_PAD src0_sel:WORD_1 src1_sel:DWORD
	v_mul_f16_sdwa v25, v6, s1 dst_sel:DWORD dst_unused:UNUSED_PAD src0_sel:WORD_1 src1_sel:DWORD
	v_pk_add_f16 v18, v18, v19
	v_fma_f16 v19, v51, s16, -v52
	s_movk_i32 s17, 0x3482
	v_fma_f16 v26, v7, s14, -v25
	v_add_f16_e32 v19, v19, v23
	v_mul_f16_sdwa v23, v9, s17 dst_sel:DWORD dst_unused:UNUSED_PAD src0_sel:WORD_1 src1_sel:DWORD
	s_mov_b32 s17, 0xbbad
	v_add_f16_e32 v26, v5, v26
	v_fma_f16 v25, v7, s14, v25
	v_fma_f16 v53, v51, s16, v52
	v_fma_f16 v52, v31, s17, -v23
	v_add_f16_e32 v25, v5, v25
	v_add_f16_e32 v26, v52, v26
	v_mul_f16_e32 v52, 0x3482, v9
	v_fma_f16 v23, v31, s17, v23
	v_add_f16_sdwa v27, v5, v27 dst_sel:DWORD dst_unused:UNUSED_PAD src0_sel:WORD_1 src1_sel:DWORD
	v_mul_f16_sdwa v29, v6, s15 dst_sel:DWORD dst_unused:UNUSED_PAD src0_sel:WORD_1 src1_sel:DWORD
	v_add_f16_e32 v23, v23, v25
	v_fma_f16 v25, v51, s17, -v52
	v_add_f16_sdwa v24, v5, v24 dst_sel:DWORD dst_unused:UNUSED_PAD src0_sel:WORD_1 src1_sel:DWORD
	v_fma_f16 v30, v7, s16, -v29
	v_add_f16_e32 v25, v25, v27
	v_mul_f16_sdwa v27, v9, s18 dst_sel:DWORD dst_unused:UNUSED_PAD src0_sel:WORD_1 src1_sel:DWORD
	v_add_f16_e32 v30, v5, v30
	v_fma_f16 v29, v7, s16, v29
	v_add_f16_e32 v24, v53, v24
	v_fma_f16 v53, v51, s17, v52
	v_fma_f16 v52, v31, s14, -v27
	v_add_f16_e32 v29, v5, v29
	v_add_f16_e32 v30, v52, v30
	v_mul_f16_e32 v52, 0x3beb, v9
	v_fma_f16 v27, v31, s14, v27
	v_add_f16_sdwa v22, v5, v22 dst_sel:DWORD dst_unused:UNUSED_PAD src0_sel:WORD_1 src1_sel:DWORD
	v_add_f16_e32 v27, v27, v29
	v_fma_f16 v29, v51, s14, -v52
	v_add_f16_e32 v22, v29, v22
	v_pk_add_f16 v29, v17, v10
	v_pk_add_f16 v10, v10, v17 neg_lo:[0,1] neg_hi:[0,1]
	v_add_f16_sdwa v28, v5, v28 dst_sel:DWORD dst_unused:UNUSED_PAD src0_sel:WORD_1 src1_sel:DWORD
	v_mul_f16_sdwa v17, v10, s1 dst_sel:DWORD dst_unused:UNUSED_PAD src0_sel:WORD_1 src1_sel:DWORD
	v_add_f16_e32 v28, v53, v28
	v_fma_f16 v53, v51, s14, v52
	v_fma_f16 v51, v29, s14, -v17
	v_fma_f16 v17, v29, s14, v17
	s_mov_b32 s18, 0xb08ebbad
	v_add_f16_e32 v2, v17, v2
	v_pk_mul_f16 v17, v29, s18
	s_mov_b32 s18, 0x3482bbeb
	v_add_f16_e32 v14, v51, v14
	v_pk_fma_f16 v51, v10, s18, v17 op_sel:[0,0,1] op_sel_hi:[1,1,0] neg_lo:[1,0,0] neg_hi:[1,0,0]
	v_pk_fma_f16 v17, v10, s18, v17 op_sel:[0,0,1] op_sel_hi:[1,1,0]
	v_add_f16_sdwa v49, v5, v49 dst_sel:DWORD dst_unused:UNUSED_PAD src0_sel:WORD_1 src1_sel:DWORD
	v_bfi_b32 v52, s0, v17, v51
	v_add_f16_e32 v49, v53, v49
	v_pk_add_f16 v21, v52, v21
	v_lshrrev_b32_e32 v52, 16, v29
	v_mul_f16_e32 v53, 0x3482, v10
	v_alignbit_b32 v17, s0, v17, 16
	v_pk_add_f16 v17, v17, v18
	v_fma_f16 v18, v52, s17, -v53
	s_movk_i32 s18, 0x3b47
	v_add_f16_e32 v18, v18, v19
	v_mul_f16_sdwa v19, v10, s18 dst_sel:DWORD dst_unused:UNUSED_PAD src0_sel:WORD_1 src1_sel:DWORD
	v_fma_f16 v54, v52, s17, v53
	v_fma_f16 v53, v29, s3, -v19
	v_add_f16_e32 v26, v53, v26
	v_mul_f16_e32 v53, 0x3b47, v10
	v_fma_f16 v19, v29, s3, v19
	v_add_f16_e32 v19, v19, v23
	v_fma_f16 v23, v52, s3, -v53
	v_add_f16_e32 v23, v23, v25
	v_mul_f16_sdwa v25, v10, s19 dst_sel:DWORD dst_unused:UNUSED_PAD src0_sel:WORD_1 src1_sel:DWORD
	v_add_f16_e32 v24, v54, v24
	v_fma_f16 v54, v52, s3, v53
	v_fma_f16 v53, v29, s2, -v25
	v_add_f16_e32 v30, v53, v30
	v_mul_f16_e32 v53, 0xb853, v10
	v_fma_f16 v25, v29, s2, v25
	v_add_f16_e32 v25, v25, v27
	v_fma_f16 v27, v52, s2, -v53
	v_add_f16_e32 v22, v27, v22
	v_pk_add_f16 v27, v16, v11
	v_pk_add_f16 v11, v11, v16 neg_lo:[0,1] neg_hi:[0,1]
	v_mul_f16_sdwa v16, v11, s15 dst_sel:DWORD dst_unused:UNUSED_PAD src0_sel:WORD_1 src1_sel:DWORD
	v_add_f16_e32 v28, v54, v28
	v_fma_f16 v54, v52, s2, v53
	v_fma_f16 v52, v27, s16, -v16
	v_fma_f16 v16, v27, s16, v16
	v_add_f16_e32 v2, v16, v2
	v_pk_mul_f16 v16, v27, s20
	s_mov_b32 s20, 0x3bebba0c
	v_add_f16_e32 v14, v52, v14
	v_pk_fma_f16 v52, v11, s20, v16 op_sel:[0,0,1] op_sel_hi:[1,1,0] neg_lo:[1,0,0] neg_hi:[1,0,0]
	v_pk_fma_f16 v16, v11, s20, v16 op_sel:[0,0,1] op_sel_hi:[1,1,0]
	v_bfi_b32 v53, s0, v16, v52
	v_add_f16_e32 v49, v54, v49
	v_pk_add_f16 v21, v53, v21
	v_lshrrev_b32_e32 v53, 16, v27
	v_mul_f16_e32 v54, 0x3beb, v11
	v_fma_f16 v55, v53, s14, v54
	v_fma_f16 v54, v53, s14, -v54
	v_add_f16_e32 v18, v54, v18
	v_mul_f16_sdwa v54, v11, s19 dst_sel:DWORD dst_unused:UNUSED_PAD src0_sel:WORD_1 src1_sel:DWORD
	v_add_f16_e32 v24, v55, v24
	v_fma_f16 v55, v27, s2, -v54
	v_add_f16_e32 v26, v55, v26
	v_mul_f16_e32 v55, 0xb853, v11
	v_fma_f16 v54, v27, s2, v54
	s_mov_b32 s19, 0xb482
	v_fma_f16 v56, v53, s2, v55
	v_add_f16_e32 v19, v54, v19
	v_fma_f16 v54, v53, s2, -v55
	v_mul_f16_sdwa v55, v11, s19 dst_sel:DWORD dst_unused:UNUSED_PAD src0_sel:WORD_1 src1_sel:DWORD
	v_add_f16_e32 v28, v56, v28
	v_fma_f16 v56, v27, s17, -v55
	v_add_f16_e32 v30, v56, v30
	v_mul_f16_e32 v56, 0xb482, v11
	v_fma_f16 v57, v53, s17, v56
	v_fma_f16 v53, v53, s17, -v56
	v_add_f16_e32 v22, v53, v22
	v_pk_add_f16 v53, v13, v12
	v_pk_add_f16 v13, v12, v13 neg_lo:[0,1] neg_hi:[0,1]
	v_fma_f16 v55, v27, s17, v55
	v_mul_f16_sdwa v12, v13, s19 dst_sel:DWORD dst_unused:UNUSED_PAD src0_sel:WORD_1 src1_sel:DWORD
	v_add_f16_e32 v25, v55, v25
	v_fma_f16 v55, v53, s17, -v12
	s_mov_b32 s20, 0xbbad3abb
	v_add_f16_e32 v14, v55, v14
	v_fma_f16 v12, v53, s17, v12
	v_pk_mul_f16 v55, v53, s20
	s_mov_b32 s20, 0x3853b482
	v_add_f16_e32 v49, v57, v49
	v_add_f16_e32 v2, v12, v2
	v_pk_fma_f16 v57, v13, s20, v55 op_sel:[0,0,1] op_sel_hi:[1,1,0] neg_lo:[1,0,0] neg_hi:[1,0,0]
	v_add_f16_sdwa v12, v5, v20 dst_sel:DWORD dst_unused:UNUSED_PAD src0_sel:WORD_1 src1_sel:DWORD
	v_pk_fma_f16 v20, v13, s20, v55 op_sel:[0,0,1] op_sel_hi:[1,1,0]
	v_bfi_b32 v20, s0, v20, v57
	v_add_f16_e32 v12, v50, v12
	v_pk_add_f16 v20, v20, v21
	v_lshrrev_b32_e32 v21, 16, v53
	v_mul_f16_e32 v50, 0x3853, v13
	v_add_f16_e32 v12, v51, v12
	v_fma_f16 v51, v21, s2, v50
	v_fma_f16 v50, v21, s2, -v50
	v_add_f16_e32 v18, v50, v18
	v_mul_f16_sdwa v50, v13, s15 dst_sel:DWORD dst_unused:UNUSED_PAD src0_sel:WORD_1 src1_sel:DWORD
	v_add_f16_e32 v24, v51, v24
	v_fma_f16 v51, v53, s16, -v50
	v_add_f16_e32 v12, v52, v12
	v_add_f16_e32 v26, v51, v26
	v_mul_f16_e32 v51, 0xb93d, v21
	v_fma_f16 v50, v53, s16, v50
	v_add_f16_e32 v12, v57, v12
	v_fma_f16 v57, v13, s15, v51
	v_add_f16_e32 v19, v50, v19
	v_mul_f16_sdwa v50, v13, s18 dst_sel:DWORD dst_unused:UNUSED_PAD src0_sel:WORD_1 src1_sel:DWORD
	v_add_f16_e32 v28, v57, v28
	v_fma_f16 v57, v53, s3, -v50
	v_add_f16_e32 v30, v57, v30
	v_mul_f16_e32 v57, 0x3b47, v13
	v_fma_f16 v58, v21, s3, v57
	v_fma_f16 v21, v21, s3, -v57
	v_add_f16_e32 v49, v58, v49
	v_add_f16_e32 v21, v21, v22
	v_alignbit_b32 v22, v24, v20, 16
	v_pack_b32_f16 v14, v14, v20
	s_waitcnt lgkmcnt(0)
	; wave barrier
	ds_write2_b32 v47, v14, v22 offset0:1 offset1:2
	v_pack_b32_f16 v14, v30, v49
	v_pack_b32_f16 v20, v26, v28
	v_pk_mul_f16 v7, v7, s17 op_sel_hi:[1,0]
	ds_write2_b32 v47, v20, v14 offset0:3 offset1:4
	v_pk_fma_f16 v14, v6, s19, v7 op_sel:[0,0,1] op_sel_hi:[1,0,0] neg_lo:[1,0,0] neg_hi:[1,0,0]
	v_pk_mul_f16 v56, v13, s20
	s_movk_i32 s20, 0x3853
	v_alignbit_b32 v20, s0, v14, 16
	v_pk_fma_f16 v6, v6, s19, v7 op_sel:[0,0,1] op_sel_hi:[1,0,0]
	v_pk_mul_f16 v7, v31, s2 op_sel_hi:[1,0]
	v_pk_add_f16 v20, v5, v20
	v_pk_add_f16 v5, v5, v6 op_sel:[1,0] op_sel_hi:[0,1]
	v_pk_add_f16 v6, v8, v14
	v_pk_fma_f16 v8, v9, s20, v7 op_sel:[0,0,1] op_sel_hi:[1,0,0] neg_lo:[1,0,0] neg_hi:[1,0,0]
	v_pk_fma_f16 v7, v9, s20, v7 op_sel:[0,0,1] op_sel_hi:[1,0,0]
	v_pk_add_f16 v5, v7, v5
	v_pk_mul_f16 v7, v29, s16 op_sel_hi:[1,0]
	v_alignbit_b32 v14, s0, v8, 16
	v_pk_add_f16 v6, v8, v6
	v_pk_fma_f16 v8, v10, s15, v7 op_sel:[0,0,1] op_sel_hi:[1,0,0] neg_lo:[1,0,0] neg_hi:[1,0,0]
	v_pk_fma_f16 v7, v10, s15, v7 op_sel:[0,0,1] op_sel_hi:[1,0,0]
	v_pk_add_f16 v5, v7, v5
	v_pk_mul_f16 v7, v27, s3 op_sel_hi:[1,0]
	v_alignbit_b32 v9, s0, v8, 16
	v_pk_add_f16 v6, v8, v6
	v_pk_fma_f16 v8, v11, s18, v7 op_sel:[0,0,1] op_sel_hi:[1,0,0] neg_lo:[1,0,0] neg_hi:[1,0,0]
	v_pk_fma_f16 v7, v11, s18, v7 op_sel:[0,0,1] op_sel_hi:[1,0,0]
	v_pk_add_f16 v14, v14, v20
	v_pk_add_f16 v5, v7, v5
	v_pk_mul_f16 v7, v53, s14 op_sel_hi:[1,0]
	v_pk_add_f16 v9, v9, v14
	v_alignbit_b32 v10, s0, v8, 16
	v_pk_add_f16 v6, v8, v6
	v_pk_fma_f16 v8, v13, s1, v7 op_sel:[0,0,1] op_sel_hi:[1,0,0] neg_lo:[1,0,0] neg_hi:[1,0,0]
	v_pk_add_f16 v9, v10, v9
	v_alignbit_b32 v10, s0, v8, 16
	v_pk_fma_f16 v7, v13, s1, v7 op_sel:[0,0,1] op_sel_hi:[1,0,0]
	v_fma_f16 v50, v53, s3, v50
	v_pk_add_f16 v9, v10, v9
	v_pk_add_f16 v5, v7, v5
	;; [unrolled: 1-line block ×3, first 2 shown]
	v_add_f16_e32 v25, v50, v25
	v_alignbit_b32 v6, v6, v5, 16
	v_pack_b32_f16 v5, v9, v5
	ds_write2_b32 v47, v5, v6 offset0:5 offset1:6
	v_pack_b32_f16 v5, v25, v21
	ds_write2_b32 v47, v4, v5 offset1:7
	v_pack_b32_f16 v4, v54, v55
	v_bfi_b32 v5, s0, v23, v56
	v_mul_f16_e32 v52, 0xba0c, v13
	v_pk_add_f16 v4, v4, v5
	v_lshlrev_b32_e32 v5, 16, v17
	v_pk_add_f16 v6, v51, v52 neg_lo:[0,1] neg_hi:[0,1]
	v_pk_add_f16 v5, v16, v5
	v_bfi_b32 v5, s0, v6, v5
	v_pk_add_f16 v4, v5, v4
	v_alignbit_b32 v5, v18, v4, 16
	v_pack_b32_f16 v4, v19, v4
	ds_write2_b32 v47, v4, v5 offset0:8 offset1:9
	v_pack_b32_f16 v4, v2, v12
	ds_write_b32 v47, v4 offset:40
	s_waitcnt lgkmcnt(0)
	; wave barrier
	s_waitcnt lgkmcnt(0)
	ds_read2_b32 v[10:11], v36 offset0:176 offset1:208
	ds_read2_b32 v[6:7], v36 offset0:32 offset1:64
	ds_read2_b32 v[8:9], v3 offset0:112 offset1:144
	ds_read2_b32 v[4:5], v36 offset0:96 offset1:128
	ds_read_b32 v13, v45
	ds_read_b32 v16, v36 offset:1216
	v_or_b32_e32 v0, 0xa0, v42
	s_mov_b64 s[0:1], 0xb0
	v_cmp_gt_u64_e32 vcc, s[0:1], v[0:1]
                                        ; implicit-def: $vgpr14
	s_and_saveexec_b64 s[0:1], vcc
	s_cbranch_execz .LBB0_3
; %bb.2:
	ds_read2_b32 v[2:3], v3 offset0:32 offset1:208
	s_waitcnt lgkmcnt(0)
	v_lshrrev_b32_e32 v12, 16, v2
	v_lshrrev_b32_e32 v14, 16, v3
.LBB0_3:
	s_or_b64 exec, exec, s[0:1]
	v_mul_lo_u16_e32 v26, 24, v42
	v_lshrrev_b16_e32 v29, 8, v26
	v_mul_lo_u16_e32 v26, 11, v29
	v_sub_u16_e32 v30, v42, v26
	v_mov_b32_e32 v26, 2
	v_lshlrev_b32_sdwa v28, v26, v30 dst_sel:DWORD dst_unused:UNUSED_PAD src0_sel:DWORD src1_sel:BYTE_0
	global_load_dword v49, v28, s[10:11]
	s_waitcnt lgkmcnt(5)
	v_lshrrev_b32_e32 v18, 16, v10
	v_lshrrev_b32_e32 v20, 16, v11
	s_waitcnt lgkmcnt(3)
	v_lshrrev_b32_e32 v22, 16, v8
	v_lshrrev_b32_e32 v23, 16, v9
	;; [unrolled: 3-line block ×3, first 2 shown]
	v_lshrrev_b32_e32 v27, 16, v5
	v_lshrrev_b32_e32 v19, 16, v6
	v_lshrrev_b32_e32 v21, 16, v7
	v_lshrrev_b32_e32 v25, 16, v4
	v_mov_b32_e32 v1, s9
	s_waitcnt vmcnt(0)
	v_mul_f16_sdwa v28, v18, v49 dst_sel:DWORD dst_unused:UNUSED_PAD src0_sel:DWORD src1_sel:WORD_1
	v_fma_f16 v28, v10, v49, -v28
	v_mul_f16_sdwa v10, v10, v49 dst_sel:DWORD dst_unused:UNUSED_PAD src0_sel:DWORD src1_sel:WORD_1
	v_fma_f16 v10, v18, v49, v10
	v_or_b32_e32 v18, 32, v42
	v_mul_lo_u16_e32 v31, 47, v18
	v_lshrrev_b16_e32 v31, 9, v31
	v_mul_lo_u16_e32 v50, 11, v31
	v_sub_u16_e32 v57, v18, v50
	v_lshlrev_b32_sdwa v18, v26, v57 dst_sel:DWORD dst_unused:UNUSED_PAD src0_sel:DWORD src1_sel:BYTE_0
	global_load_dword v50, v18, s[10:11]
	v_sub_f16_e32 v64, v17, v10
	v_fma_f16 v63, v17, 2.0, -v64
	s_waitcnt vmcnt(0)
	v_mul_f16_sdwa v18, v20, v50 dst_sel:DWORD dst_unused:UNUSED_PAD src0_sel:DWORD src1_sel:WORD_1
	v_fma_f16 v18, v11, v50, -v18
	v_mul_f16_sdwa v11, v11, v50 dst_sel:DWORD dst_unused:UNUSED_PAD src0_sel:DWORD src1_sel:WORD_1
	v_fma_f16 v11, v20, v50, v11
	v_or_b32_e32 v20, 64, v42
	v_mul_lo_u16_e32 v51, 0xbb, v20
	v_lshrrev_b16_e32 v58, 11, v51
	v_mul_lo_u16_e32 v51, 11, v58
	v_sub_u16_e32 v20, v20, v51
	v_lshlrev_b32_sdwa v51, v26, v20 dst_sel:DWORD dst_unused:UNUSED_PAD src0_sel:DWORD src1_sel:BYTE_0
	global_load_dword v52, v51, s[10:11]
	v_sub_f16_e32 v18, v6, v18
	v_sub_f16_e32 v65, v19, v11
	v_fma_f16 v17, v6, 2.0, -v18
	v_fma_f16 v66, v19, 2.0, -v65
	s_waitcnt vmcnt(0)
	v_mul_f16_sdwa v51, v22, v52 dst_sel:DWORD dst_unused:UNUSED_PAD src0_sel:DWORD src1_sel:WORD_1
	v_fma_f16 v56, v8, v52, -v51
	v_mul_f16_sdwa v8, v8, v52 dst_sel:DWORD dst_unused:UNUSED_PAD src0_sel:DWORD src1_sel:WORD_1
	v_fma_f16 v8, v22, v52, v8
	v_or_b32_e32 v22, 0x60, v42
	v_mul_lo_u16_e32 v51, 0xbb, v22
	v_lshrrev_b16_e32 v59, 11, v51
	v_mul_lo_u16_e32 v51, 11, v59
	v_sub_u16_e32 v60, v22, v51
	v_lshlrev_b32_sdwa v22, v26, v60 dst_sel:DWORD dst_unused:UNUSED_PAD src0_sel:DWORD src1_sel:BYTE_0
	global_load_dword v53, v22, s[10:11]
	v_sub_f16_e32 v67, v21, v8
	v_fma_f16 v69, v21, 2.0, -v67
	s_waitcnt vmcnt(0)
	v_mul_f16_sdwa v22, v23, v53 dst_sel:DWORD dst_unused:UNUSED_PAD src0_sel:DWORD src1_sel:WORD_1
	v_fma_f16 v61, v9, v53, -v22
	v_mul_f16_sdwa v9, v9, v53 dst_sel:DWORD dst_unused:UNUSED_PAD src0_sel:DWORD src1_sel:WORD_1
	v_or_b32_e32 v22, 0x80, v42
	v_fma_f16 v9, v23, v53, v9
	v_mul_lo_u16_e32 v23, 0x75, v22
	v_sub_u16_sdwa v51, v22, v23 dst_sel:DWORD dst_unused:UNUSED_PAD src0_sel:DWORD src1_sel:BYTE_1
	v_lshrrev_b16_e32 v51, 1, v51
	v_and_b32_e32 v51, 0x7f, v51
	v_add_u16_sdwa v23, v51, v23 dst_sel:DWORD dst_unused:UNUSED_PAD src0_sel:DWORD src1_sel:BYTE_1
	v_lshrrev_b16_e32 v23, 3, v23
	v_and_b32_e32 v75, 31, v23
	v_mul_lo_u16_e32 v23, 11, v75
	v_sub_u16_e32 v76, v22, v23
	v_lshlrev_b32_sdwa v22, v26, v76 dst_sel:DWORD dst_unused:UNUSED_PAD src0_sel:DWORD src1_sel:BYTE_0
	global_load_dword v54, v22, s[10:11]
	v_sub_f16_e32 v68, v25, v9
	v_fma_f16 v70, v25, 2.0, -v68
	s_waitcnt vmcnt(0)
	v_mul_f16_sdwa v22, v24, v54 dst_sel:DWORD dst_unused:UNUSED_PAD src0_sel:DWORD src1_sel:WORD_1
	v_fma_f16 v71, v16, v54, -v22
	v_mul_f16_sdwa v16, v16, v54 dst_sel:DWORD dst_unused:UNUSED_PAD src0_sel:DWORD src1_sel:WORD_1
	v_fma_f16 v72, v24, v54, v16
	v_mul_lo_u16_e32 v16, 0x75, v0
	v_sub_u16_sdwa v22, v0, v16 dst_sel:DWORD dst_unused:UNUSED_PAD src0_sel:DWORD src1_sel:BYTE_1
	v_lshrrev_b16_e32 v22, 1, v22
	v_and_b32_e32 v22, 0x7f, v22
	v_add_u16_sdwa v16, v22, v16 dst_sel:DWORD dst_unused:UNUSED_PAD src0_sel:DWORD src1_sel:BYTE_1
	v_lshrrev_b16_e32 v77, 3, v16
	v_mul_lo_u16_e32 v16, 11, v77
	v_sub_u16_e32 v51, v0, v16
	v_lshlrev_b32_sdwa v0, v26, v51 dst_sel:DWORD dst_unused:UNUSED_PAD src0_sel:DWORD src1_sel:BYTE_0
	global_load_dword v55, v0, s[10:11]
	v_sub_f16_e32 v16, v13, v28
	v_fma_f16 v62, v13, 2.0, -v16
	v_sub_f16_e32 v72, v27, v72
	v_sub_f16_e32 v22, v7, v56
	v_sub_f16_e32 v26, v5, v71
	v_fma_f16 v71, v27, 2.0, -v72
	s_waitcnt lgkmcnt(0)
	; wave barrier
	v_fma_f16 v19, v7, 2.0, -v22
	v_sub_f16_e32 v24, v4, v61
	v_fma_f16 v23, v4, 2.0, -v24
	v_fma_f16 v25, v5, 2.0, -v26
	s_waitcnt vmcnt(0)
	v_mul_f16_sdwa v0, v14, v55 dst_sel:DWORD dst_unused:UNUSED_PAD src0_sel:DWORD src1_sel:WORD_1
	v_fma_f16 v0, v3, v55, -v0
	v_sub_f16_e32 v28, v2, v0
	v_mad_legacy_u16 v0, v29, 22, v30
	v_and_b32_e32 v0, 0xff, v0
	v_fma_f16 v27, v2, 2.0, -v28
	v_add_lshl_u32 v56, v48, v0, 2
	v_pack_b32_f16 v0, v62, v63
	v_pack_b32_f16 v2, v16, v64
	ds_write2_b32 v56, v0, v2 offset1:11
	v_mad_legacy_u16 v0, v31, 22, v57
	v_and_b32_e32 v0, 0xff, v0
	v_add_lshl_u32 v57, v48, v0, 2
	v_pack_b32_f16 v0, v17, v66
	v_pack_b32_f16 v2, v18, v65
	ds_write2_b32 v57, v0, v2 offset1:11
	v_mul_u32_u24_e32 v0, 22, v58
	v_add_u32_sdwa v0, v0, v20 dst_sel:DWORD dst_unused:UNUSED_PAD src0_sel:DWORD src1_sel:BYTE_0
	v_add_lshl_u32 v58, v48, v0, 2
	v_pack_b32_f16 v0, v19, v69
	v_pack_b32_f16 v2, v22, v67
	ds_write2_b32 v58, v0, v2 offset1:11
	v_mul_u32_u24_e32 v0, 22, v59
	v_add_u32_sdwa v0, v0, v60 dst_sel:DWORD dst_unused:UNUSED_PAD src0_sel:DWORD src1_sel:BYTE_0
	v_add_lshl_u32 v59, v48, v0, 2
	v_pack_b32_f16 v0, v23, v70
	v_pack_b32_f16 v2, v24, v68
	v_mul_f16_sdwa v3, v3, v55 dst_sel:DWORD dst_unused:UNUSED_PAD src0_sel:DWORD src1_sel:WORD_1
	ds_write2_b32 v59, v0, v2 offset1:11
	v_mov_b32_e32 v0, 22
	v_fma_f16 v3, v14, v55, v3
	v_mul_u32_u24_sdwa v0, v75, v0 dst_sel:DWORD dst_unused:UNUSED_PAD src0_sel:WORD_0 src1_sel:DWORD
	v_sub_f16_e32 v73, v12, v3
	v_add_u32_sdwa v0, v0, v76 dst_sel:DWORD dst_unused:UNUSED_PAD src0_sel:DWORD src1_sel:BYTE_0
	v_fma_f16 v74, v12, 2.0, -v73
	v_add_lshl_u32 v61, v48, v0, 2
	v_pack_b32_f16 v0, v25, v71
	v_pack_b32_f16 v2, v26, v72
	v_mul_u32_u24_e32 v60, 22, v77
	ds_write2_b32 v61, v0, v2 offset1:11
	s_and_saveexec_b64 s[0:1], vcc
	s_cbranch_execz .LBB0_5
; %bb.4:
	v_add_u32_sdwa v0, v60, v51 dst_sel:DWORD dst_unused:UNUSED_PAD src0_sel:DWORD src1_sel:BYTE_0
	s_mov_b32 s2, 0x5040100
	v_add_lshl_u32 v0, v48, v0, 2
	v_perm_b32 v2, v74, v27, s2
	v_perm_b32 v3, v73, v28, s2
	ds_write2_b32 v0, v2, v3 offset1:11
.LBB0_5:
	s_or_b64 exec, exec, s[0:1]
	v_add_co_u32_e64 v20, s[0:1], s8, v46
	v_addc_co_u32_e64 v21, s[0:1], 0, v1, s[0:1]
	v_cmp_gt_u32_e64 s[0:1], 22, v42
	s_waitcnt lgkmcnt(0)
	; wave barrier
	s_waitcnt lgkmcnt(0)
                                        ; implicit-def: $vgpr75
                                        ; implicit-def: $vgpr76
                                        ; implicit-def: $vgpr31
                                        ; implicit-def: $vgpr77
                                        ; implicit-def: $vgpr78
                                        ; implicit-def: $vgpr79
	s_and_saveexec_b64 s[2:3], s[0:1]
	s_cbranch_execz .LBB0_7
; %bb.6:
	v_add_u32_e32 v0, 0x200, v36
	ds_read_b32 v62, v45
	ds_read2_b32 v[16:17], v36 offset0:22 offset1:44
	ds_read2_b32 v[18:19], v36 offset0:66 offset1:88
	ds_read_b32 v75, v36 offset:1320
	ds_read2_b32 v[28:29], v0 offset0:114 offset1:136
	v_add_u32_e32 v0, 0x400, v36
	ds_read2_b32 v[22:23], v36 offset0:110 offset1:132
	ds_read2_b32 v[24:25], v36 offset0:154 offset1:176
	;; [unrolled: 1-line block ×4, first 2 shown]
	s_waitcnt lgkmcnt(8)
	v_lshrrev_b32_e32 v63, 16, v62
	s_waitcnt lgkmcnt(7)
	v_lshrrev_b32_e32 v64, 16, v16
	v_lshrrev_b32_e32 v66, 16, v17
	s_waitcnt lgkmcnt(6)
	v_lshrrev_b32_e32 v65, 16, v18
	;; [unrolled: 3-line block ×5, first 2 shown]
	v_lshrrev_b32_e32 v74, 16, v27
	v_lshrrev_b32_e32 v73, 16, v28
	v_lshrrev_b32_e32 v79, 16, v29
	s_waitcnt lgkmcnt(0)
	v_lshrrev_b32_e32 v78, 16, v30
	v_lshrrev_b32_e32 v77, 16, v31
	;; [unrolled: 1-line block ×3, first 2 shown]
.LBB0_7:
	s_or_b64 exec, exec, s[2:3]
	v_subrev_u32_e32 v0, 22, v42
	v_cndmask_b32_e64 v0, v0, v42, s[0:1]
	v_mul_hi_i32_i24_e32 v1, 60, v0
	v_mul_i32_i24_e32 v0, 60, v0
	v_mov_b32_e32 v2, s11
	v_add_co_u32_e64 v80, s[2:3], s10, v0
	v_addc_co_u32_e64 v81, s[2:3], v2, v1, s[2:3]
	global_load_dwordx4 v[0:3], v[80:81], off offset:44
	global_load_dwordx4 v[4:7], v[80:81], off offset:60
	;; [unrolled: 1-line block ×3, first 2 shown]
	global_load_dwordx3 v[12:14], v[80:81], off offset:92
	s_mov_b32 s10, 0xb9a8
	s_movk_i32 s11, 0x39a8
	s_mov_b32 s14, 0xb61f
	s_movk_i32 s2, 0x3b64
	s_movk_i32 s16, 0x361f
	s_mov_b32 s15, 0xbb64
	s_waitcnt vmcnt(3)
	v_mul_f16_sdwa v86, v69, v3 dst_sel:DWORD dst_unused:UNUSED_PAD src0_sel:DWORD src1_sel:WORD_1
	v_mul_f16_sdwa v87, v19, v3 dst_sel:DWORD dst_unused:UNUSED_PAD src0_sel:DWORD src1_sel:WORD_1
	s_waitcnt vmcnt(2)
	v_mul_f16_sdwa v94, v71, v7 dst_sel:DWORD dst_unused:UNUSED_PAD src0_sel:DWORD src1_sel:WORD_1
	v_mul_f16_sdwa v95, v25, v7 dst_sel:DWORD dst_unused:UNUSED_PAD src0_sel:DWORD src1_sel:WORD_1
	;; [unrolled: 3-line block ×3, first 2 shown]
	v_mul_f16_sdwa v81, v16, v0 dst_sel:DWORD dst_unused:UNUSED_PAD src0_sel:DWORD src1_sel:WORD_1
	v_mul_f16_sdwa v82, v66, v1 dst_sel:DWORD dst_unused:UNUSED_PAD src0_sel:DWORD src1_sel:WORD_1
	;; [unrolled: 1-line block ×5, first 2 shown]
	s_waitcnt vmcnt(0)
	v_mul_f16_sdwa v106, v77, v13 dst_sel:DWORD dst_unused:UNUSED_PAD src0_sel:DWORD src1_sel:WORD_1
	v_fma_f16 v19, v19, v3, -v86
	v_fma_f16 v69, v69, v3, v87
	v_fma_f16 v25, v25, v7, -v94
	v_fma_f16 v71, v71, v7, v95
	;; [unrolled: 2-line block ×3, first 2 shown]
	v_mul_f16_sdwa v80, v64, v0 dst_sel:DWORD dst_unused:UNUSED_PAD src0_sel:DWORD src1_sel:WORD_1
	v_mul_f16_sdwa v83, v17, v1 dst_sel:DWORD dst_unused:UNUSED_PAD src0_sel:DWORD src1_sel:WORD_1
	;; [unrolled: 1-line block ×10, first 2 shown]
	v_fma_f16 v17, v17, v1, -v82
	v_fma_f16 v64, v64, v0, v81
	v_fma_f16 v23, v23, v5, -v90
	v_fma_f16 v72, v72, v8, v97
	v_fma_f16 v27, v27, v9, -v98
	v_fma_f16 v31, v31, v13, -v106
	v_sub_f16_e32 v25, v62, v25
	v_sub_f16_e32 v71, v63, v71
	;; [unrolled: 1-line block ×4, first 2 shown]
	v_mul_f16_sdwa v84, v65, v2 dst_sel:DWORD dst_unused:UNUSED_PAD src0_sel:DWORD src1_sel:WORD_1
	v_mul_f16_sdwa v89, v22, v4 dst_sel:DWORD dst_unused:UNUSED_PAD src0_sel:DWORD src1_sel:WORD_1
	;; [unrolled: 1-line block ×6, first 2 shown]
	v_fma_f16 v16, v16, v0, -v80
	v_fma_f16 v22, v22, v4, -v88
	v_fma_f16 v70, v70, v5, v91
	v_fma_f16 v24, v24, v6, -v92
	v_fma_f16 v26, v26, v8, -v96
	v_fma_f16 v30, v30, v12, -v104
	v_fma_f16 v77, v77, v13, v107
	v_fma_f16 v75, v75, v14, -v108
	v_sub_f16_e32 v80, v17, v27
	v_sub_f16_e32 v31, v23, v31
	v_fma_f16 v62, v62, 2.0, -v25
	v_fma_f16 v63, v63, 2.0, -v71
	;; [unrolled: 1-line block ×4, first 2 shown]
	v_sub_f16_e32 v72, v64, v72
	v_mul_f16_sdwa v85, v18, v2 dst_sel:DWORD dst_unused:UNUSED_PAD src0_sel:DWORD src1_sel:WORD_1
	v_mul_f16_sdwa v101, v28, v10 dst_sel:DWORD dst_unused:UNUSED_PAD src0_sel:DWORD src1_sel:WORD_1
	v_fma_f16 v66, v66, v1, v83
	v_fma_f16 v18, v18, v2, -v84
	v_fma_f16 v74, v74, v9, v99
	v_fma_f16 v28, v28, v10, -v100
	v_sub_f16_e32 v77, v70, v77
	v_fma_f16 v17, v17, 2.0, -v80
	v_fma_f16 v69, v23, 2.0, -v31
	v_sub_f16_e32 v81, v16, v26
	v_fma_f16 v26, v64, 2.0, -v72
	v_sub_f16_e32 v64, v22, v30
	v_sub_f16_e32 v75, v24, v75
	;; [unrolled: 1-line block ×4, first 2 shown]
	v_fma_f16 v65, v65, v2, v85
	v_fma_f16 v67, v67, v4, v89
	;; [unrolled: 1-line block ×6, first 2 shown]
	v_sub_f16_e32 v74, v66, v74
	v_fma_f16 v16, v16, 2.0, -v81
	v_fma_f16 v22, v22, 2.0, -v64
	v_sub_f16_e32 v82, v18, v28
	v_fma_f16 v83, v24, 2.0, -v75
	v_fma_f16 v24, v62, 2.0, -v30
	;; [unrolled: 1-line block ×3, first 2 shown]
	v_sub_f16_e32 v19, v25, v79
	v_add_f16_e32 v62, v71, v29
	v_sub_f16_e32 v63, v17, v69
	v_sub_f16_e32 v85, v80, v77
	v_fma_f16 v70, v70, 2.0, -v77
	v_sub_f16_e32 v78, v67, v78
	v_sub_f16_e32 v73, v65, v73
	v_fma_f16 v18, v18, 2.0, -v82
	v_sub_f16_e32 v76, v68, v76
	v_fma_f16 v28, v25, 2.0, -v19
	v_fma_f16 v25, v71, 2.0, -v62
	;; [unrolled: 1-line block ×3, first 2 shown]
	v_add_f16_e32 v31, v74, v31
	v_fma_f16 v77, v80, 2.0, -v85
	v_sub_f16_e32 v71, v16, v22
	v_fma_f16 v66, v66, 2.0, -v74
	v_fma_f16 v67, v67, 2.0, -v78
	v_fma_f16 v74, v74, 2.0, -v31
	v_fma_f16 v29, v16, 2.0, -v71
	v_sub_f16_e32 v16, v81, v78
	v_add_f16_e32 v22, v72, v64
	v_sub_f16_e32 v64, v18, v83
	v_sub_f16_e32 v86, v82, v76
	v_add_f16_e32 v87, v73, v75
	v_sub_f16_e32 v69, v24, v17
	v_fma_f16 v17, v77, s10, v28
	v_fma_f16 v65, v65, 2.0, -v73
	v_fma_f16 v84, v68, 2.0, -v76
	v_sub_f16_e32 v79, v66, v70
	v_sub_f16_e32 v70, v26, v67
	v_fma_f16 v68, v81, 2.0, -v16
	v_fma_f16 v67, v72, 2.0, -v22
	;; [unrolled: 1-line block ×5, first 2 shown]
	v_fma_f16 v72, v74, s10, v25
	v_fma_f16 v74, v74, s10, v17
	;; [unrolled: 1-line block ×3, first 2 shown]
	v_sub_f16_e32 v83, v65, v84
	v_add_f16_e32 v76, v27, v63
	v_fma_f16 v63, v31, s11, v62
	v_fma_f16 v84, v31, s10, v17
	v_sub_f16_e32 v75, v29, v18
	v_fma_f16 v17, v78, s10, v68
	v_fma_f16 v18, v82, s10, v67
	v_fma_f16 v66, v66, 2.0, -v79
	v_fma_f16 v72, v77, s11, v72
	v_sub_f16_e32 v77, v30, v79
	v_fma_f16 v85, v85, s11, v63
	v_fma_f16 v79, v82, s10, v17
	;; [unrolled: 1-line block ×5, first 2 shown]
	v_fma_f16 v81, v62, 2.0, -v85
	v_add_f16_e32 v82, v70, v64
	v_fma_f16 v64, v87, s10, v17
	v_fma_f16 v62, v86, s11, v18
	v_fma_f16 v17, v16, 2.0, -v64
	v_fma_f16 v16, v22, 2.0, -v62
	;; [unrolled: 1-line block ×3, first 2 shown]
	v_fma_f16 v19, v16, s14, v81
	v_fma_f16 v26, v26, 2.0, -v70
	v_fma_f16 v65, v65, 2.0, -v83
	v_sub_f16_e32 v83, v71, v83
	v_fma_f16 v18, v17, s14, v80
	v_fma_f16 v22, v17, s2, v19
	;; [unrolled: 1-line block ×3, first 2 shown]
	v_sub_f16_e32 v66, v23, v66
	v_sub_f16_e32 v73, v26, v65
	v_fma_f16 v16, v16, s15, v18
	v_fma_f16 v18, v79, s16, v74
	;; [unrolled: 1-line block ×7, first 2 shown]
	v_sub_f16_e32 v17, v69, v73
	v_add_f16_e32 v31, v66, v75
	v_fma_f16 v18, v78, s15, v18
	v_fma_f16 v19, v82, s10, v19
	;; [unrolled: 1-line block ×5, first 2 shown]
	s_and_saveexec_b64 s[2:3], s[0:1]
	s_cbranch_execz .LBB0_9
; %bb.8:
	v_fma_f16 v30, v30, 2.0, -v77
	v_fma_f16 v71, v71, 2.0, -v83
	;; [unrolled: 1-line block ×3, first 2 shown]
	v_fma_f16 v77, v71, s10, v30
	v_fma_f16 v70, v70, 2.0, -v82
	v_fma_f16 v27, v27, 2.0, -v76
	v_fma_f16 v77, v70, s10, v77
	v_fma_f16 v70, v70, s10, v27
	v_fma_f16 v28, v28, 2.0, -v74
	v_fma_f16 v68, v68, 2.0, -v79
	v_fma_f16 v70, v71, s11, v70
	v_fma_f16 v71, v68, s15, v28
	v_fma_f16 v67, v67, 2.0, -v78
	v_fma_f16 v25, v25, 2.0, -v72
	;; [unrolled: 1-line block ×6, first 2 shown]
	v_fma_f16 v71, v67, s14, v71
	v_fma_f16 v67, v67, s15, v25
	v_sub_f16_e32 v29, v24, v29
	v_sub_f16_e32 v26, v23, v26
	v_fma_f16 v67, v68, s16, v67
	v_fma_f16 v24, v24, 2.0, -v29
	v_fma_f16 v23, v23, 2.0, -v26
	;; [unrolled: 1-line block ×6, first 2 shown]
	v_pack_b32_f16 v23, v24, v23
	v_fma_f16 v90, v69, 2.0, -v17
	v_fma_f16 v91, v66, 2.0, -v31
	v_fma_f16 v80, v80, 2.0, -v16
	v_fma_f16 v81, v81, 2.0, -v22
	ds_write_b32 v45, v23
	v_pack_b32_f16 v23, v28, v25
	v_pack_b32_f16 v24, v30, v27
	v_fma_f16 v87, v76, 2.0, -v65
	v_fma_f16 v88, v74, 2.0, -v18
	;; [unrolled: 1-line block ×3, first 2 shown]
	ds_write2_b32 v36, v23, v24 offset0:22 offset1:44
	v_pack_b32_f16 v23, v80, v81
	v_pack_b32_f16 v24, v90, v91
	v_fma_f16 v84, v84, 2.0, -v62
	v_fma_f16 v85, v85, 2.0, -v64
	ds_write2_b32 v36, v23, v24 offset0:66 offset1:88
	v_pack_b32_f16 v23, v88, v89
	v_pack_b32_f16 v24, v86, v87
	ds_write2_b32 v36, v23, v24 offset0:110 offset1:132
	v_pack_b32_f16 v23, v84, v85
	v_pack_b32_f16 v24, v29, v26
	;; [unrolled: 3-line block ×3, first 2 shown]
	s_mov_b32 s10, 0x5040100
	ds_write2_b32 v36, v23, v24 offset0:198 offset1:220
	v_perm_b32 v23, v22, v16, s10
	v_perm_b32 v24, v31, v17, s10
	v_add_u32_e32 v25, 0x200, v36
	ds_write2_b32 v25, v23, v24 offset0:114 offset1:136
	v_perm_b32 v23, v63, v18, s10
	v_perm_b32 v24, v65, v19, s10
	v_add_u32_e32 v25, 0x400, v36
	ds_write2_b32 v25, v23, v24 offset0:30 offset1:52
	v_perm_b32 v23, v64, v62, s10
	ds_write_b32 v36, v23 offset:1320
.LBB0_9:
	s_or_b64 exec, exec, s[2:3]
	s_waitcnt lgkmcnt(0)
	; wave barrier
	s_waitcnt lgkmcnt(0)
	global_load_dword v20, v[20:21], off offset:1408
	s_add_u32 s2, s8, 0x580
	s_addc_u32 s3, s9, 0
	global_load_dword v29, v46, s[2:3] offset:128
	global_load_dword v66, v46, s[2:3] offset:256
	;; [unrolled: 1-line block ×10, first 2 shown]
	ds_read_b32 v21, v45
	v_lshlrev_b32_e32 v48, 2, v48
	v_add_u32_e32 v75, 0x400, v36
	v_add_u32_e32 v30, v48, v46
	s_mov_b32 s14, 0xb853
	s_waitcnt lgkmcnt(0)
	v_lshrrev_b32_e32 v23, 16, v21
	s_movk_i32 s10, 0x3abb
	s_mov_b32 s15, 0xbb47
	s_mov_b32 s2, 0xffff
	s_movk_i32 s3, 0x36a6
	s_mov_b32 s17, 0xba0c
	s_mov_b32 s18, 0xb93d
	;; [unrolled: 3-line block ×3, first 2 shown]
	s_movk_i32 s20, 0x3482
	s_movk_i32 s19, 0x3a0c
	s_mov_b32 s21, 0xbbad
	s_movk_i32 s16, 0x3beb
	s_mov_b32 s22, 0xb482
	s_movk_i32 s23, 0x3853
	s_waitcnt vmcnt(10)
	v_mul_f16_sdwa v24, v23, v20 dst_sel:DWORD dst_unused:UNUSED_PAD src0_sel:DWORD src1_sel:WORD_1
	v_mul_f16_sdwa v25, v21, v20 dst_sel:DWORD dst_unused:UNUSED_PAD src0_sel:DWORD src1_sel:WORD_1
	v_fma_f16 v21, v21, v20, -v24
	v_fma_f16 v20, v23, v20, v25
	v_pack_b32_f16 v20, v21, v20
	ds_write_b32 v45, v20
	ds_read2_b32 v[20:21], v36 offset0:32 offset1:64
	ds_read2_b32 v[23:24], v36 offset0:96 offset1:128
	;; [unrolled: 1-line block ×3, first 2 shown]
	ds_read2_b32 v[27:28], v75 offset1:32
	ds_read_b32 v46, v30 offset:640
	ds_read_b32 v76, v36 offset:1280
	s_waitcnt lgkmcnt(5)
	v_lshrrev_b32_e32 v77, 16, v20
	s_waitcnt vmcnt(9)
	v_mul_f16_sdwa v78, v20, v29 dst_sel:DWORD dst_unused:UNUSED_PAD src0_sel:DWORD src1_sel:WORD_1
	v_lshrrev_b32_e32 v79, 16, v21
	s_waitcnt vmcnt(8)
	v_mul_f16_sdwa v80, v21, v66 dst_sel:DWORD dst_unused:UNUSED_PAD src0_sel:DWORD src1_sel:WORD_1
	s_waitcnt lgkmcnt(4)
	v_lshrrev_b32_e32 v81, 16, v23
	s_waitcnt vmcnt(7)
	v_mul_f16_sdwa v82, v23, v67 dst_sel:DWORD dst_unused:UNUSED_PAD src0_sel:DWORD src1_sel:WORD_1
	v_lshrrev_b32_e32 v83, 16, v24
	s_waitcnt vmcnt(6)
	v_mul_f16_sdwa v84, v24, v68 dst_sel:DWORD dst_unused:UNUSED_PAD src0_sel:DWORD src1_sel:WORD_1
	;; [unrolled: 7-line block ×3, first 2 shown]
	v_lshrrev_b32_e32 v89, 16, v26
	s_waitcnt vmcnt(3)
	v_mul_f16_sdwa v90, v26, v71 dst_sel:DWORD dst_unused:UNUSED_PAD src0_sel:DWORD src1_sel:WORD_1
	v_lshrrev_b32_e32 v91, 16, v27
	s_waitcnt vmcnt(2)
	v_mul_f16_sdwa v92, v27, v72 dst_sel:DWORD dst_unused:UNUSED_PAD src0_sel:DWORD src1_sel:WORD_1
	v_lshrrev_b32_e32 v93, 16, v28
	v_mul_f16_sdwa v96, v77, v29 dst_sel:DWORD dst_unused:UNUSED_PAD src0_sel:DWORD src1_sel:WORD_1
	v_fma_f16 v77, v77, v29, v78
	v_mul_f16_sdwa v78, v79, v66 dst_sel:DWORD dst_unused:UNUSED_PAD src0_sel:DWORD src1_sel:WORD_1
	s_waitcnt vmcnt(1)
	v_mul_f16_sdwa v94, v28, v73 dst_sel:DWORD dst_unused:UNUSED_PAD src0_sel:DWORD src1_sel:WORD_1
	v_fma_f16 v79, v79, v66, v80
	v_mul_f16_sdwa v80, v81, v67 dst_sel:DWORD dst_unused:UNUSED_PAD src0_sel:DWORD src1_sel:WORD_1
	v_fma_f16 v81, v81, v67, v82
	;; [unrolled: 2-line block ×7, first 2 shown]
	v_mul_f16_sdwa v92, v93, v73 dst_sel:DWORD dst_unused:UNUSED_PAD src0_sel:DWORD src1_sel:WORD_1
	v_fma_f16 v20, v20, v29, -v96
	v_fma_f16 v21, v21, v66, -v78
	s_waitcnt lgkmcnt(0)
	v_lshrrev_b32_e32 v95, 16, v76
	v_fma_f16 v93, v93, v73, v94
	v_fma_f16 v23, v23, v67, -v80
	v_fma_f16 v24, v24, v68, -v82
	;; [unrolled: 1-line block ×7, first 2 shown]
	v_pack_b32_f16 v20, v20, v77
	v_pack_b32_f16 v21, v21, v79
	s_waitcnt vmcnt(0)
	v_mul_f16_sdwa v94, v95, v74 dst_sel:DWORD dst_unused:UNUSED_PAD src0_sel:DWORD src1_sel:WORD_1
	v_pack_b32_f16 v23, v23, v81
	v_pack_b32_f16 v24, v24, v83
	;; [unrolled: 1-line block ×7, first 2 shown]
	ds_write2_b32 v36, v20, v21 offset0:32 offset1:64
	ds_write2_b32 v36, v23, v24 offset0:96 offset1:128
	ds_write_b32 v30, v29 offset:640
	ds_write2_b32 v36, v25, v26 offset0:192 offset1:224
	ds_write2_b32 v75, v27, v28 offset1:32
	v_mul_f16_sdwa v20, v76, v74 dst_sel:DWORD dst_unused:UNUSED_PAD src0_sel:DWORD src1_sel:WORD_1
	v_fma_f16 v46, v76, v74, -v94
	v_fma_f16 v20, v95, v74, v20
	v_pack_b32_f16 v20, v46, v20
	ds_write_b32 v36, v20 offset:1280
	s_waitcnt lgkmcnt(0)
	; wave barrier
	s_waitcnt lgkmcnt(0)
	ds_read_b32 v29, v45
	ds_read2_b32 v[20:21], v36 offset0:32 offset1:64
	ds_read2_b32 v[23:24], v36 offset0:96 offset1:128
	;; [unrolled: 1-line block ×3, first 2 shown]
	ds_read2_b32 v[27:28], v75 offset1:32
	ds_read_b32 v46, v30 offset:640
	ds_read_b32 v66, v36 offset:1280
	s_waitcnt lgkmcnt(5)
	v_pk_add_f16 v67, v29, v20
	v_pk_add_f16 v67, v67, v21
	s_waitcnt lgkmcnt(4)
	v_pk_add_f16 v67, v67, v23
	v_pk_add_f16 v67, v67, v24
	;; [unrolled: 3-line block ×3, first 2 shown]
	v_pk_add_f16 v67, v67, v26
	v_pk_add_f16 v67, v67, v27
	;; [unrolled: 1-line block ×3, first 2 shown]
	s_waitcnt lgkmcnt(0)
	v_pk_add_f16 v68, v66, v20
	v_pk_add_f16 v20, v20, v66 neg_lo:[0,1] neg_hi:[0,1]
	v_pk_add_f16 v67, v67, v66
	v_pk_mul_f16 v66, v20, s14 op_sel_hi:[1,0]
	v_pk_add_f16 v83, v28, v21
	v_pk_add_f16 v21, v21, v28 neg_lo:[0,1] neg_hi:[0,1]
	v_pk_fma_f16 v69, v68, s10, v66 op_sel:[0,0,1] op_sel_hi:[1,0,0]
	v_pk_fma_f16 v66, v68, s10, v66 op_sel:[0,0,1] op_sel_hi:[1,0,0] neg_lo:[0,0,1] neg_hi:[0,0,1]
	v_pk_mul_f16 v28, v21, s15 op_sel_hi:[1,0]
	v_bfi_b32 v70, s2, v69, v66
	v_pk_fma_f16 v84, v83, s3, v28 op_sel:[0,0,1] op_sel_hi:[1,0,0]
	v_pk_fma_f16 v28, v83, s3, v28 op_sel:[0,0,1] op_sel_hi:[1,0,0] neg_lo:[0,0,1] neg_hi:[0,0,1]
	v_pk_add_f16 v70, v29, v70
	v_mul_f16_sdwa v71, v20, s15 dst_sel:DWORD dst_unused:UNUSED_PAD src0_sel:WORD_1 src1_sel:DWORD
	v_bfi_b32 v85, s2, v84, v28
	v_fma_f16 v72, v68, s3, v71
	v_pk_add_f16 v70, v85, v70
	v_mul_f16_sdwa v85, v21, s17 dst_sel:DWORD dst_unused:UNUSED_PAD src0_sel:WORD_1 src1_sel:DWORD
	v_add_f16_e32 v72, v29, v72
	v_mul_f16_sdwa v73, v68, s3 dst_sel:DWORD dst_unused:UNUSED_PAD src0_sel:WORD_1 src1_sel:DWORD
	v_fma_f16 v71, v68, s3, -v71
	v_fma_f16 v86, v83, s18, v85
	v_fma_f16 v74, v20, s8, v73
	v_add_f16_e32 v71, v29, v71
	v_fma_f16 v73, v20, s15, v73
	v_add_f16_e32 v72, v86, v72
	v_mul_f16_sdwa v86, v83, s18 dst_sel:DWORD dst_unused:UNUSED_PAD src0_sel:WORD_1 src1_sel:DWORD
	v_fma_f16 v85, v83, s18, -v85
	v_add_f16_sdwa v73, v29, v73 dst_sel:DWORD dst_unused:UNUSED_PAD src0_sel:WORD_1 src1_sel:DWORD
	v_mul_f16_sdwa v75, v20, s9 dst_sel:DWORD dst_unused:UNUSED_PAD src0_sel:WORD_1 src1_sel:DWORD
	v_add_f16_e32 v71, v85, v71
	v_fma_f16 v85, v21, s17, v86
	v_fma_f16 v76, v68, s11, v75
	v_add_f16_e32 v73, v85, v73
	v_mul_f16_sdwa v85, v21, s20 dst_sel:DWORD dst_unused:UNUSED_PAD src0_sel:WORD_1 src1_sel:DWORD
	v_add_f16_e32 v76, v29, v76
	v_mul_f16_sdwa v77, v68, s11 dst_sel:DWORD dst_unused:UNUSED_PAD src0_sel:WORD_1 src1_sel:DWORD
	v_fma_f16 v75, v68, s11, -v75
	v_fma_f16 v87, v21, s19, v86
	v_fma_f16 v86, v83, s21, v85
	v_fma_f16 v78, v20, s16, v77
	v_add_f16_e32 v75, v29, v75
	v_fma_f16 v77, v20, s9, v77
	v_add_f16_e32 v76, v86, v76
	v_mul_f16_sdwa v86, v83, s21 dst_sel:DWORD dst_unused:UNUSED_PAD src0_sel:WORD_1 src1_sel:DWORD
	v_fma_f16 v85, v83, s21, -v85
	v_add_f16_sdwa v77, v29, v77 dst_sel:DWORD dst_unused:UNUSED_PAD src0_sel:WORD_1 src1_sel:DWORD
	v_mul_f16_sdwa v79, v20, s17 dst_sel:DWORD dst_unused:UNUSED_PAD src0_sel:WORD_1 src1_sel:DWORD
	v_add_f16_e32 v75, v85, v75
	v_fma_f16 v85, v21, s20, v86
	v_add_f16_sdwa v74, v29, v74 dst_sel:DWORD dst_unused:UNUSED_PAD src0_sel:WORD_1 src1_sel:DWORD
	v_fma_f16 v80, v68, s18, v79
	v_add_f16_e32 v77, v85, v77
	v_mul_f16_sdwa v85, v21, s16 dst_sel:DWORD dst_unused:UNUSED_PAD src0_sel:WORD_1 src1_sel:DWORD
	v_add_f16_e32 v80, v29, v80
	v_mul_f16_sdwa v81, v68, s18 dst_sel:DWORD dst_unused:UNUSED_PAD src0_sel:WORD_1 src1_sel:DWORD
	v_fma_f16 v79, v68, s18, -v79
	v_add_f16_e32 v74, v87, v74
	v_fma_f16 v87, v21, s22, v86
	v_fma_f16 v86, v83, s11, v85
	;; [unrolled: 1-line block ×3, first 2 shown]
	v_add_f16_e32 v79, v29, v79
	v_fma_f16 v81, v20, s17, v81
	v_add_f16_e32 v80, v86, v80
	v_mul_f16_sdwa v86, v83, s11 dst_sel:DWORD dst_unused:UNUSED_PAD src0_sel:WORD_1 src1_sel:DWORD
	v_fma_f16 v85, v83, s11, -v85
	v_add_f16_sdwa v81, v29, v81 dst_sel:DWORD dst_unused:UNUSED_PAD src0_sel:WORD_1 src1_sel:DWORD
	v_add_f16_e32 v79, v85, v79
	v_fma_f16 v85, v21, s16, v86
	v_add_f16_e32 v81, v85, v81
	v_pk_add_f16 v85, v27, v23
	v_pk_add_f16 v23, v23, v27 neg_lo:[0,1] neg_hi:[0,1]
	v_add_f16_sdwa v78, v29, v78 dst_sel:DWORD dst_unused:UNUSED_PAD src0_sel:WORD_1 src1_sel:DWORD
	v_pk_mul_f16 v27, v23, s9 op_sel_hi:[1,0]
	v_add_f16_sdwa v82, v29, v82 dst_sel:DWORD dst_unused:UNUSED_PAD src0_sel:WORD_1 src1_sel:DWORD
	v_add_f16_e32 v78, v87, v78
	v_fma_f16 v87, v21, s9, v86
	v_pk_fma_f16 v86, v85, s11, v27 op_sel:[0,0,1] op_sel_hi:[1,0,0]
	v_pk_fma_f16 v27, v85, s11, v27 op_sel:[0,0,1] op_sel_hi:[1,0,0] neg_lo:[0,0,1] neg_hi:[0,0,1]
	v_add_f16_e32 v82, v87, v82
	v_bfi_b32 v87, s2, v86, v27
	v_pk_add_f16 v70, v87, v70
	v_mul_f16_sdwa v87, v23, s20 dst_sel:DWORD dst_unused:UNUSED_PAD src0_sel:WORD_1 src1_sel:DWORD
	v_fma_f16 v88, v85, s21, v87
	v_add_f16_e32 v72, v88, v72
	v_mul_f16_sdwa v88, v85, s21 dst_sel:DWORD dst_unused:UNUSED_PAD src0_sel:WORD_1 src1_sel:DWORD
	v_fma_f16 v87, v85, s21, -v87
	v_add_f16_e32 v71, v87, v71
	v_fma_f16 v87, v23, s20, v88
	v_add_f16_e32 v73, v87, v73
	v_mul_f16_sdwa v87, v23, s8 dst_sel:DWORD dst_unused:UNUSED_PAD src0_sel:WORD_1 src1_sel:DWORD
	v_fma_f16 v89, v23, s22, v88
	v_fma_f16 v88, v85, s3, v87
	v_add_f16_e32 v76, v88, v76
	v_mul_f16_sdwa v88, v85, s3 dst_sel:DWORD dst_unused:UNUSED_PAD src0_sel:WORD_1 src1_sel:DWORD
	v_fma_f16 v87, v85, s3, -v87
	v_add_f16_e32 v75, v87, v75
	v_fma_f16 v87, v23, s8, v88
	v_add_f16_e32 v77, v87, v77
	v_mul_f16_sdwa v87, v23, s14 dst_sel:DWORD dst_unused:UNUSED_PAD src0_sel:WORD_1 src1_sel:DWORD
	v_add_f16_e32 v74, v89, v74
	v_fma_f16 v89, v23, s15, v88
	v_fma_f16 v88, v85, s10, v87
	v_add_f16_e32 v80, v88, v80
	v_mul_f16_sdwa v88, v85, s10 dst_sel:DWORD dst_unused:UNUSED_PAD src0_sel:WORD_1 src1_sel:DWORD
	v_fma_f16 v87, v85, s10, -v87
	v_add_f16_e32 v79, v87, v79
	v_fma_f16 v87, v23, s14, v88
	v_add_f16_e32 v81, v87, v81
	v_pk_add_f16 v87, v26, v24
	v_pk_add_f16 v24, v24, v26 neg_lo:[0,1] neg_hi:[0,1]
	v_pk_mul_f16 v26, v24, s17 op_sel_hi:[1,0]
	v_add_f16_e32 v78, v89, v78
	v_fma_f16 v89, v23, s23, v88
	v_pk_fma_f16 v88, v87, s18, v26 op_sel:[0,0,1] op_sel_hi:[1,0,0]
	v_pk_fma_f16 v26, v87, s18, v26 op_sel:[0,0,1] op_sel_hi:[1,0,0] neg_lo:[0,0,1] neg_hi:[0,0,1]
	v_add_f16_e32 v82, v89, v82
	v_bfi_b32 v89, s2, v88, v26
	v_pk_add_f16 v70, v89, v70
	v_mul_f16_sdwa v89, v24, s16 dst_sel:DWORD dst_unused:UNUSED_PAD src0_sel:WORD_1 src1_sel:DWORD
	v_fma_f16 v90, v87, s11, v89
	v_add_f16_e32 v72, v90, v72
	v_mul_f16_sdwa v90, v87, s11 dst_sel:DWORD dst_unused:UNUSED_PAD src0_sel:WORD_1 src1_sel:DWORD
	v_fma_f16 v89, v87, s11, -v89
	v_add_f16_e32 v71, v89, v71
	v_fma_f16 v89, v24, s16, v90
	v_add_f16_e32 v73, v89, v73
	v_mul_f16_sdwa v89, v24, s14 dst_sel:DWORD dst_unused:UNUSED_PAD src0_sel:WORD_1 src1_sel:DWORD
	v_fma_f16 v91, v24, s9, v90
	v_fma_f16 v90, v87, s10, v89
	v_add_f16_e32 v76, v90, v76
	v_mul_f16_sdwa v90, v87, s10 dst_sel:DWORD dst_unused:UNUSED_PAD src0_sel:WORD_1 src1_sel:DWORD
	v_fma_f16 v89, v87, s10, -v89
	v_add_f16_e32 v75, v89, v75
	v_fma_f16 v89, v24, s14, v90
	v_add_f16_e32 v77, v89, v77
	v_mul_f16_sdwa v89, v24, s22 dst_sel:DWORD dst_unused:UNUSED_PAD src0_sel:WORD_1 src1_sel:DWORD
	v_add_f16_e32 v74, v91, v74
	v_fma_f16 v91, v24, s23, v90
	v_fma_f16 v90, v87, s21, v89
	v_add_f16_e32 v80, v90, v80
	v_mul_f16_sdwa v90, v87, s21 dst_sel:DWORD dst_unused:UNUSED_PAD src0_sel:WORD_1 src1_sel:DWORD
	v_fma_f16 v89, v87, s21, -v89
	v_add_f16_e32 v79, v89, v79
	v_fma_f16 v89, v24, s22, v90
	v_add_f16_e32 v81, v89, v81
	v_pk_add_f16 v89, v25, v46
	v_pk_add_f16 v25, v46, v25 neg_lo:[0,1] neg_hi:[0,1]
	v_pk_mul_f16 v46, v25, s22 op_sel_hi:[1,0]
	v_add_f16_e32 v78, v91, v78
	v_fma_f16 v91, v24, s20, v90
	v_pk_fma_f16 v90, v89, s21, v46 op_sel:[0,0,1] op_sel_hi:[1,0,0]
	v_pk_fma_f16 v46, v89, s21, v46 op_sel:[0,0,1] op_sel_hi:[1,0,0] neg_lo:[0,0,1] neg_hi:[0,0,1]
	v_add_f16_e32 v82, v91, v82
	v_bfi_b32 v91, s2, v90, v46
	v_pk_add_f16 v70, v91, v70
	v_mul_f16_sdwa v91, v25, s23 dst_sel:DWORD dst_unused:UNUSED_PAD src0_sel:WORD_1 src1_sel:DWORD
	v_fma_f16 v92, v89, s10, v91
	v_add_f16_e32 v72, v92, v72
	v_mul_f16_sdwa v92, v89, s10 dst_sel:DWORD dst_unused:UNUSED_PAD src0_sel:WORD_1 src1_sel:DWORD
	v_fma_f16 v91, v89, s10, -v91
	v_add_f16_e32 v71, v91, v71
	v_fma_f16 v91, v25, s23, v92
	v_add_f16_e32 v73, v91, v73
	v_mul_f16_sdwa v91, v25, s17 dst_sel:DWORD dst_unused:UNUSED_PAD src0_sel:WORD_1 src1_sel:DWORD
	v_fma_f16 v93, v25, s14, v92
	v_fma_f16 v92, v89, s18, v91
	v_add_f16_e32 v76, v92, v76
	v_mul_f16_sdwa v92, v89, s18 dst_sel:DWORD dst_unused:UNUSED_PAD src0_sel:WORD_1 src1_sel:DWORD
	v_fma_f16 v91, v89, s18, -v91
	v_add_f16_e32 v75, v91, v75
	v_fma_f16 v91, v25, s17, v92
	v_add_f16_e32 v77, v91, v77
	v_mul_f16_sdwa v91, v25, s8 dst_sel:DWORD dst_unused:UNUSED_PAD src0_sel:WORD_1 src1_sel:DWORD
	v_add_f16_e32 v74, v93, v74
	v_fma_f16 v93, v25, s19, v92
	v_fma_f16 v92, v89, s3, v91
	v_add_f16_e32 v80, v92, v80
	v_mul_f16_sdwa v92, v89, s3 dst_sel:DWORD dst_unused:UNUSED_PAD src0_sel:WORD_1 src1_sel:DWORD
	v_add_f16_e32 v78, v93, v78
	v_fma_f16 v93, v25, s15, v92
	s_waitcnt lgkmcnt(0)
	; wave barrier
	v_add_f16_e32 v82, v93, v82
	ds_write2_b32 v47, v67, v70 offset1:1
	v_pack_b32_f16 v67, v76, v78
	v_pack_b32_f16 v70, v72, v74
	ds_write2_b32 v47, v70, v67 offset0:2 offset1:3
	v_pack_b32_f16 v67, v80, v82
	ds_write_b32 v47, v67 offset:16
	v_pk_mul_f16 v67, v68, s21 op_sel_hi:[1,0]
	v_pk_fma_f16 v68, v20, s22, v67 op_sel:[0,0,1] op_sel_hi:[1,0,0]
	v_pk_fma_f16 v20, v20, s22, v67 op_sel:[0,0,1] op_sel_hi:[1,0,0] neg_lo:[1,0,0] neg_hi:[1,0,0]
	v_alignbit_b32 v67, s0, v29, 16
	v_alignbit_b32 v70, s0, v68, 16
	v_pk_add_f16 v67, v67, v68
	v_pk_mul_f16 v68, v83, s10 op_sel_hi:[1,0]
	v_pk_add_f16 v20, v29, v20 op_sel:[1,0] op_sel_hi:[0,1]
	v_pk_fma_f16 v72, v21, s23, v68 op_sel:[0,0,1] op_sel_hi:[1,0,0]
	v_pk_fma_f16 v21, v21, s23, v68 op_sel:[0,0,1] op_sel_hi:[1,0,0] neg_lo:[1,0,0] neg_hi:[1,0,0]
	v_pk_add_f16 v20, v21, v20
	v_pk_add_f16 v21, v72, v67
	v_pk_mul_f16 v67, v85, s18 op_sel_hi:[1,0]
	v_pk_fma_f16 v68, v23, s17, v67 op_sel:[0,0,1] op_sel_hi:[1,0,0]
	v_pk_fma_f16 v23, v23, s17, v67 op_sel:[0,0,1] op_sel_hi:[1,0,0] neg_lo:[1,0,0] neg_hi:[1,0,0]
	v_pk_add_f16 v20, v23, v20
	v_pk_mul_f16 v23, v87, s3 op_sel_hi:[1,0]
	v_pk_add_f16 v70, v29, v70
	v_alignbit_b32 v74, s0, v72, 16
	v_pk_fma_f16 v67, v24, s8, v23 op_sel:[0,0,1] op_sel_hi:[1,0,0]
	v_pk_fma_f16 v23, v24, s8, v23 op_sel:[0,0,1] op_sel_hi:[1,0,0] neg_lo:[1,0,0] neg_hi:[1,0,0]
	v_pk_add_f16 v70, v74, v70
	v_alignbit_b32 v72, s0, v68, 16
	v_pk_add_f16 v20, v23, v20
	v_pk_mul_f16 v23, v89, s11 op_sel_hi:[1,0]
	v_pk_add_f16 v70, v72, v70
	v_pk_add_f16 v21, v68, v21
	v_alignbit_b32 v68, s0, v67, 16
	v_pk_fma_f16 v24, v25, s9, v23 op_sel:[0,0,1] op_sel_hi:[1,0,0]
	v_fma_f16 v91, v89, s3, -v91
	v_pk_add_f16 v68, v68, v70
	v_pk_add_f16 v21, v67, v21
	v_alignbit_b32 v67, s0, v24, 16
	v_pk_fma_f16 v23, v25, s9, v23 op_sel:[0,0,1] op_sel_hi:[1,0,0] neg_lo:[1,0,0] neg_hi:[1,0,0]
	v_add_f16_e32 v79, v91, v79
	v_fma_f16 v91, v25, s8, v92
	v_pk_add_f16 v67, v67, v68
	v_pk_add_f16 v20, v23, v20
	;; [unrolled: 1-line block ×3, first 2 shown]
	v_add_f16_e32 v81, v91, v81
	v_alignbit_b32 v21, v21, v20, 16
	v_pack_b32_f16 v20, v67, v20
	ds_write2_b32 v47, v20, v21 offset0:5 offset1:6
	v_pack_b32_f16 v20, v75, v77
	v_pack_b32_f16 v21, v79, v81
	ds_write2_b32 v47, v21, v20 offset0:7 offset1:8
	v_bfi_b32 v20, s2, v66, v69
	v_pk_add_f16 v20, v29, v20
	v_bfi_b32 v21, s2, v28, v84
	v_pk_add_f16 v20, v21, v20
	;; [unrolled: 2-line block ×5, first 2 shown]
	v_pack_b32_f16 v20, v71, v73
	ds_write2_b32 v47, v20, v70 offset0:9 offset1:10
	v_add_u32_e32 v20, 0x200, v36
	s_waitcnt lgkmcnt(0)
	; wave barrier
	s_waitcnt lgkmcnt(0)
	ds_read2_b32 v[25:26], v36 offset0:176 offset1:208
	ds_read2_b32 v[23:24], v36 offset0:32 offset1:64
	;; [unrolled: 1-line block ×4, first 2 shown]
	ds_read_b32 v27, v45
	ds_read_b32 v46, v36 offset:1216
	v_lshrrev_b32_e32 v71, 16, v70
	s_and_saveexec_b64 s[2:3], vcc
	s_cbranch_execz .LBB0_11
; %bb.10:
	ds_read_b32 v70, v30 offset:640
	ds_read_b32 v16, v36 offset:1344
	s_waitcnt lgkmcnt(1)
	v_lshrrev_b32_e32 v71, 16, v70
	s_waitcnt lgkmcnt(0)
	v_lshrrev_b32_e32 v22, 16, v16
.LBB0_11:
	s_or_b64 exec, exec, s[2:3]
	s_waitcnt lgkmcnt(5)
	v_lshrrev_b32_e32 v66, 16, v25
	v_mul_f16_sdwa v77, v49, v66 dst_sel:DWORD dst_unused:UNUSED_PAD src0_sel:WORD_1 src1_sel:DWORD
	v_lshrrev_b32_e32 v68, 16, v26
	v_fma_f16 v77, v49, v25, v77
	v_mul_f16_sdwa v25, v49, v25 dst_sel:DWORD dst_unused:UNUSED_PAD src0_sel:WORD_1 src1_sel:DWORD
	v_fma_f16 v25, v49, v66, -v25
	v_mul_f16_sdwa v49, v50, v68 dst_sel:DWORD dst_unused:UNUSED_PAD src0_sel:WORD_1 src1_sel:DWORD
	s_waitcnt lgkmcnt(3)
	v_lshrrev_b32_e32 v72, 16, v20
	v_fma_f16 v49, v50, v26, v49
	v_mul_f16_sdwa v26, v50, v26 dst_sel:DWORD dst_unused:UNUSED_PAD src0_sel:WORD_1 src1_sel:DWORD
	v_fma_f16 v26, v50, v68, -v26
	v_mul_f16_sdwa v50, v52, v72 dst_sel:DWORD dst_unused:UNUSED_PAD src0_sel:WORD_1 src1_sel:DWORD
	v_lshrrev_b32_e32 v74, 16, v21
	v_fma_f16 v66, v52, v20, v50
	v_mul_f16_sdwa v20, v52, v20 dst_sel:DWORD dst_unused:UNUSED_PAD src0_sel:WORD_1 src1_sel:DWORD
	v_fma_f16 v52, v52, v72, -v20
	v_mul_f16_sdwa v20, v53, v74 dst_sel:DWORD dst_unused:UNUSED_PAD src0_sel:WORD_1 src1_sel:DWORD
	s_waitcnt lgkmcnt(0)
	v_lshrrev_b32_e32 v76, 16, v46
	v_fma_f16 v72, v53, v21, v20
	v_mul_f16_sdwa v20, v53, v21 dst_sel:DWORD dst_unused:UNUSED_PAD src0_sel:WORD_1 src1_sel:DWORD
	v_fma_f16 v74, v53, v74, -v20
	v_mul_f16_sdwa v20, v54, v76 dst_sel:DWORD dst_unused:UNUSED_PAD src0_sel:WORD_1 src1_sel:DWORD
	v_fma_f16 v78, v54, v46, v20
	v_mul_f16_sdwa v20, v54, v46 dst_sel:DWORD dst_unused:UNUSED_PAD src0_sel:WORD_1 src1_sel:DWORD
	v_lshrrev_b32_e32 v67, 16, v23
	v_fma_f16 v76, v54, v76, -v20
	v_mul_f16_sdwa v20, v55, v22 dst_sel:DWORD dst_unused:UNUSED_PAD src0_sel:WORD_1 src1_sel:DWORD
	v_lshrrev_b32_e32 v47, 16, v27
	v_fma_f16 v79, v55, v16, v20
	v_mul_f16_sdwa v16, v55, v16 dst_sel:DWORD dst_unused:UNUSED_PAD src0_sel:WORD_1 src1_sel:DWORD
	v_sub_f16_e32 v54, v67, v26
	v_sub_f16_e32 v26, v24, v66
	v_lshrrev_b32_e32 v69, 16, v24
	v_fma_f16 v80, v55, v22, -v16
	v_sub_f16_e32 v22, v27, v77
	v_sub_f16_e32 v50, v47, v25
	v_fma_f16 v21, v24, 2.0, -v26
	v_sub_f16_e32 v24, v28, v72
	v_lshrrev_b32_e32 v73, 16, v28
	v_fma_f16 v46, v27, 2.0, -v22
	v_fma_f16 v47, v47, 2.0, -v50
	v_sub_f16_e32 v20, v23, v49
	v_fma_f16 v68, v67, 2.0, -v54
	v_fma_f16 v27, v28, 2.0, -v24
	v_sub_f16_e32 v28, v29, v78
	v_sub_f16_e32 v16, v70, v79
	v_sub_f16_e32 v67, v71, v80
	v_lshrrev_b32_e32 v75, 16, v29
	v_fma_f16 v23, v23, 2.0, -v20
	v_sub_f16_e32 v53, v69, v52
	v_fma_f16 v25, v29, 2.0, -v28
	v_fma_f16 v29, v70, 2.0, -v16
	;; [unrolled: 1-line block ×3, first 2 shown]
	v_pack_b32_f16 v71, v46, v47
	v_pack_b32_f16 v72, v22, v50
	v_fma_f16 v49, v69, 2.0, -v53
	v_sub_f16_e32 v66, v73, v74
	s_waitcnt lgkmcnt(0)
	; wave barrier
	ds_write2_b32 v56, v71, v72 offset1:11
	v_pack_b32_f16 v56, v23, v68
	v_pack_b32_f16 v71, v20, v54
	v_fma_f16 v69, v73, 2.0, -v66
	v_sub_f16_e32 v55, v75, v76
	ds_write2_b32 v57, v56, v71 offset1:11
	v_pack_b32_f16 v56, v21, v49
	v_pack_b32_f16 v57, v26, v53
	v_fma_f16 v52, v75, 2.0, -v55
	ds_write2_b32 v58, v56, v57 offset1:11
	v_pack_b32_f16 v56, v27, v69
	v_pack_b32_f16 v57, v24, v66
	ds_write2_b32 v59, v56, v57 offset1:11
	v_pack_b32_f16 v56, v25, v52
	v_pack_b32_f16 v57, v28, v55
	ds_write2_b32 v61, v56, v57 offset1:11
	s_and_saveexec_b64 s[2:3], vcc
	s_cbranch_execz .LBB0_13
; %bb.12:
	v_add_u32_sdwa v51, v60, v51 dst_sel:DWORD dst_unused:UNUSED_PAD src0_sel:DWORD src1_sel:BYTE_0
	s_mov_b32 s8, 0x5040100
	v_lshl_add_u32 v48, v51, 2, v48
	v_perm_b32 v51, v70, v29, s8
	v_perm_b32 v56, v67, v16, s8
	ds_write2_b32 v48, v51, v56 offset1:11
.LBB0_13:
	s_or_b64 exec, exec, s[2:3]
	s_waitcnt lgkmcnt(0)
	; wave barrier
	s_waitcnt lgkmcnt(0)
	s_and_saveexec_b64 s[2:3], s[0:1]
	s_cbranch_execz .LBB0_15
; %bb.14:
	v_add_u32_e32 v16, 0x200, v36
	v_add_u32_e32 v18, 0x400, v36
	ds_read_b32 v46, v45
	ds_read2_b32 v[22:23], v36 offset0:22 offset1:44
	ds_read2_b32 v[20:21], v36 offset0:66 offset1:88
	ds_read_b32 v62, v36 offset:1320
	ds_read2_b32 v[26:27], v36 offset0:110 offset1:132
	ds_read2_b32 v[24:25], v36 offset0:154 offset1:176
	;; [unrolled: 1-line block ×5, first 2 shown]
	s_waitcnt lgkmcnt(8)
	v_lshrrev_b32_e32 v47, 16, v46
	s_waitcnt lgkmcnt(7)
	v_lshrrev_b32_e32 v50, 16, v22
	v_lshrrev_b32_e32 v68, 16, v23
	s_waitcnt lgkmcnt(6)
	v_lshrrev_b32_e32 v54, 16, v20
	v_lshrrev_b32_e32 v49, 16, v21
	s_waitcnt lgkmcnt(4)
	v_lshrrev_b32_e32 v53, 16, v26
	v_lshrrev_b32_e32 v69, 16, v27
	s_waitcnt lgkmcnt(3)
	v_lshrrev_b32_e32 v66, 16, v24
	v_lshrrev_b32_e32 v52, 16, v25
	s_waitcnt lgkmcnt(2)
	v_lshrrev_b32_e32 v55, 16, v28
	v_lshrrev_b32_e32 v70, 16, v29
	s_waitcnt lgkmcnt(1)
	v_lshrrev_b32_e32 v67, 16, v16
	v_lshrrev_b32_e32 v31, 16, v17
	s_waitcnt lgkmcnt(0)
	v_lshrrev_b32_e32 v63, 16, v18
	v_lshrrev_b32_e32 v65, 16, v19
	v_lshrrev_b32_e32 v64, 16, v62
.LBB0_15:
	s_or_b64 exec, exec, s[2:3]
	s_and_saveexec_b64 s[2:3], s[0:1]
	s_cbranch_execz .LBB0_17
; %bb.16:
	v_mul_f16_sdwa v57, v13, v65 dst_sel:DWORD dst_unused:UNUSED_PAD src0_sel:WORD_1 src1_sel:DWORD
	v_fma_f16 v57, v13, v19, v57
	v_mul_f16_sdwa v19, v13, v19 dst_sel:DWORD dst_unused:UNUSED_PAD src0_sel:WORD_1 src1_sel:DWORD
	v_mul_f16_sdwa v48, v1, v23 dst_sel:DWORD dst_unused:UNUSED_PAD src0_sel:WORD_1 src1_sel:DWORD
	v_fma_f16 v13, v13, v65, -v19
	v_mul_f16_sdwa v19, v1, v68 dst_sel:DWORD dst_unused:UNUSED_PAD src0_sel:WORD_1 src1_sel:DWORD
	v_fma_f16 v48, v1, v68, -v48
	v_mul_f16_sdwa v51, v9, v29 dst_sel:DWORD dst_unused:UNUSED_PAD src0_sel:WORD_1 src1_sel:DWORD
	v_fma_f16 v1, v1, v23, v19
	v_mul_f16_sdwa v19, v9, v70 dst_sel:DWORD dst_unused:UNUSED_PAD src0_sel:WORD_1 src1_sel:DWORD
	v_fma_f16 v51, v9, v70, -v51
	v_mul_f16_sdwa v56, v5, v69 dst_sel:DWORD dst_unused:UNUSED_PAD src0_sel:WORD_1 src1_sel:DWORD
	v_fma_f16 v9, v9, v29, v19
	v_mul_f16_sdwa v29, v7, v52 dst_sel:DWORD dst_unused:UNUSED_PAD src0_sel:WORD_1 src1_sel:DWORD
	v_mul_f16_sdwa v68, v6, v66 dst_sel:DWORD dst_unused:UNUSED_PAD src0_sel:WORD_1 src1_sel:DWORD
	v_fma_f16 v56, v5, v27, v56
	v_mul_f16_sdwa v27, v5, v27 dst_sel:DWORD dst_unused:UNUSED_PAD src0_sel:WORD_1 src1_sel:DWORD
	v_fma_f16 v29, v7, v25, v29
	v_fma_f16 v68, v6, v24, v68
	v_mul_f16_sdwa v74, v12, v63 dst_sel:DWORD dst_unused:UNUSED_PAD src0_sel:WORD_1 src1_sel:DWORD
	v_mul_f16_sdwa v24, v6, v24 dst_sel:DWORD dst_unused:UNUSED_PAD src0_sel:WORD_1 src1_sel:DWORD
	;; [unrolled: 1-line block ×3, first 2 shown]
	v_fma_f16 v5, v5, v69, -v27
	v_mul_f16_sdwa v23, v3, v21 dst_sel:DWORD dst_unused:UNUSED_PAD src0_sel:WORD_1 src1_sel:DWORD
	v_mul_f16_sdwa v27, v11, v17 dst_sel:DWORD dst_unused:UNUSED_PAD src0_sel:WORD_1 src1_sel:DWORD
	;; [unrolled: 1-line block ×3, first 2 shown]
	v_fma_f16 v74, v12, v18, v74
	v_fma_f16 v6, v6, v66, -v24
	v_mul_f16_sdwa v24, v14, v62 dst_sel:DWORD dst_unused:UNUSED_PAD src0_sel:WORD_1 src1_sel:DWORD
	v_mul_f16_sdwa v18, v12, v18 dst_sel:DWORD dst_unused:UNUSED_PAD src0_sel:WORD_1 src1_sel:DWORD
	v_fma_f16 v7, v7, v52, -v25
	v_mul_f16_sdwa v25, v3, v49 dst_sel:DWORD dst_unused:UNUSED_PAD src0_sel:WORD_1 src1_sel:DWORD
	v_fma_f16 v23, v3, v49, -v23
	v_fma_f16 v27, v11, v31, -v27
	v_mul_f16_sdwa v61, v2, v20 dst_sel:DWORD dst_unused:UNUSED_PAD src0_sel:WORD_1 src1_sel:DWORD
	v_mul_f16_sdwa v65, v10, v16 dst_sel:DWORD dst_unused:UNUSED_PAD src0_sel:WORD_1 src1_sel:DWORD
	v_fma_f16 v69, v14, v62, v69
	v_mul_f16_sdwa v71, v0, v22 dst_sel:DWORD dst_unused:UNUSED_PAD src0_sel:WORD_1 src1_sel:DWORD
	v_mul_f16_sdwa v72, v8, v28 dst_sel:DWORD dst_unused:UNUSED_PAD src0_sel:WORD_1 src1_sel:DWORD
	;; [unrolled: 1-line block ×3, first 2 shown]
	v_fma_f16 v14, v14, v64, -v24
	v_mul_f16_sdwa v24, v2, v54 dst_sel:DWORD dst_unused:UNUSED_PAD src0_sel:WORD_1 src1_sel:DWORD
	v_fma_f16 v12, v12, v63, -v18
	v_mul_f16_sdwa v18, v0, v50 dst_sel:DWORD dst_unused:UNUSED_PAD src0_sel:WORD_1 src1_sel:DWORD
	v_fma_f16 v3, v3, v21, v25
	v_mul_f16_sdwa v21, v11, v31 dst_sel:DWORD dst_unused:UNUSED_PAD src0_sel:WORD_1 src1_sel:DWORD
	v_sub_f16_e32 v13, v5, v13
	v_sub_f16_e32 v9, v1, v9
	;; [unrolled: 1-line block ×4, first 2 shown]
	v_fma_f16 v61, v2, v54, -v61
	v_fma_f16 v65, v10, v67, -v65
	;; [unrolled: 1-line block ×4, first 2 shown]
	v_fma_f16 v73, v4, v26, v73
	v_fma_f16 v2, v2, v20, v24
	v_mul_f16_sdwa v20, v10, v67 dst_sel:DWORD dst_unused:UNUSED_PAD src0_sel:WORD_1 src1_sel:DWORD
	v_mul_f16_sdwa v24, v4, v26 dst_sel:DWORD dst_unused:UNUSED_PAD src0_sel:WORD_1 src1_sel:DWORD
	v_fma_f16 v0, v0, v22, v18
	v_mul_f16_sdwa v18, v8, v55 dst_sel:DWORD dst_unused:UNUSED_PAD src0_sel:WORD_1 src1_sel:DWORD
	v_fma_f16 v11, v11, v17, v21
	v_sub_f16_e32 v51, v48, v51
	v_sub_f16_e32 v57, v56, v57
	v_add_f16_e32 v19, v13, v9
	v_add_f16_e32 v59, v27, v29
	s_movk_i32 s0, 0x39a8
	v_sub_f16_e32 v65, v61, v65
	v_sub_f16_e32 v69, v68, v69
	;; [unrolled: 1-line block ×4, first 2 shown]
	v_fma_f16 v10, v10, v16, v20
	v_fma_f16 v4, v4, v53, -v24
	v_fma_f16 v8, v8, v28, v18
	v_sub_f16_e32 v7, v47, v7
	v_sub_f16_e32 v11, v3, v11
	;; [unrolled: 1-line block ×3, first 2 shown]
	v_fma_f16 v60, v19, s0, v59
	v_sub_f16_e32 v70, v65, v69
	v_sub_f16_e32 v75, v72, v74
	v_sub_f16_e32 v14, v6, v14
	v_sub_f16_e32 v10, v2, v10
	v_sub_f16_e32 v12, v4, v12
	v_sub_f16_e32 v8, v0, v8
	v_sub_f16_e32 v17, v7, v11
	v_fma_f16 v60, v58, s0, v60
	v_add_f16_e32 v16, v14, v10
	s_mov_b32 s1, 0xb9a8
	v_add_f16_e32 v18, v12, v8
	v_fma_f16 v21, v58, s0, v17
	v_fma_f16 v31, v48, 2.0, -v51
	v_fma_f16 v5, v5, 2.0, -v13
	;; [unrolled: 1-line block ×13, first 2 shown]
	v_fma_f16 v76, v70, s0, v75
	v_fma_f16 v22, v16, s0, v18
	v_sub_f16_e32 v5, v31, v5
	v_sub_f16_e32 v3, v13, v3
	v_fma_f16 v46, v71, 2.0, -v72
	v_fma_f16 v4, v4, 2.0, -v12
	;; [unrolled: 1-line block ×4, first 2 shown]
	v_sub_f16_e32 v6, v49, v6
	v_sub_f16_e32 v14, v0, v14
	v_fma_f16 v47, v47, 2.0, -v7
	v_fma_f16 v1, v1, 2.0, -v9
	;; [unrolled: 1-line block ×4, first 2 shown]
	v_fma_f16 v61, v58, s1, v57
	v_fma_f16 v10, v10, 2.0, -v16
	v_fma_f16 v8, v8, 2.0, -v18
	v_fma_f16 v20, v16, s1, v76
	v_fma_f16 v22, v70, s0, v22
	s_movk_i32 s8, 0x3b64
	v_fma_f16 v21, v19, s1, v21
	v_add_f16_e32 v11, v5, v3
	v_sub_f16_e32 v4, v46, v4
	v_sub_f16_e32 v12, v2, v12
	v_add_f16_e32 v50, v6, v14
	v_sub_f16_e32 v23, v47, v23
	v_sub_f16_e32 v27, v1, v27
	v_fma_f16 v19, v9, s1, v29
	v_fma_f16 v16, v10, s1, v61
	;; [unrolled: 1-line block ×3, first 2 shown]
	v_fma_f16 v7, v7, 2.0, -v17
	v_fma_f16 v24, v22, s8, v60
	s_movk_i32 s9, 0x361f
	v_fma_f16 v25, v20, s8, v21
	s_mov_b32 s10, 0xb61f
	v_sub_f16_e32 v48, v4, v12
	v_fma_f16 v52, v50, s0, v11
	v_sub_f16_e32 v54, v23, v27
	v_fma_f16 v19, v51, s0, v19
	v_fma_f16 v10, v58, s0, v10
	;; [unrolled: 1-line block ×3, first 2 shown]
	v_fma_f16 v13, v13, 2.0, -v3
	v_fma_f16 v1, v1, 2.0, -v27
	;; [unrolled: 1-line block ×10, first 2 shown]
	v_fma_f16 v24, v20, s9, v24
	v_fma_f16 v25, v22, s10, v25
	;; [unrolled: 1-line block ×5, first 2 shown]
	v_sub_f16_e32 v1, v13, v1
	v_sub_f16_e32 v6, v27, v6
	;; [unrolled: 1-line block ×4, first 2 shown]
	v_fma_f16 v20, v75, 2.0, -v20
	v_fma_f16 v22, v18, s10, v59
	v_fma_f16 v17, v17, 2.0, -v21
	v_fma_f16 v53, v11, 2.0, -v52
	v_fma_f16 v58, v16, s8, v58
	v_fma_f16 v51, v16, s9, v9
	s_mov_b32 s11, 0xbb64
	v_add_f16_e32 v46, v1, v6
	v_sub_f16_e32 v12, v5, v2
	v_fma_f16 v22, v20, s8, v22
	v_fma_f16 v20, v20, s10, v17
	v_fma_f16 v3, v3, 2.0, -v11
	v_fma_f16 v11, v14, 2.0, -v50
	;; [unrolled: 1-line block ×3, first 2 shown]
	v_fma_f16 v51, v10, s11, v51
	v_fma_f16 v49, v1, 2.0, -v46
	v_fma_f16 v31, v5, 2.0, -v12
	v_fma_f16 v18, v18, s11, v20
	v_fma_f16 v4, v4, 2.0, -v48
	v_fma_f16 v14, v11, s1, v3
	v_fma_f16 v20, v23, 2.0, -v54
	v_fma_f16 v19, v29, 2.0, -v19
	;; [unrolled: 1-line block ×10, first 2 shown]
	v_fma_f16 v14, v4, s0, v14
	v_fma_f16 v4, v4, s1, v20
	;; [unrolled: 1-line block ×4, first 2 shown]
	v_sub_f16_e32 v0, v1, v0
	v_sub_f16_e32 v5, v2, v5
	v_fma_f16 v4, v11, s1, v4
	v_fma_f16 v10, v16, s9, v10
	;; [unrolled: 1-line block ×3, first 2 shown]
	v_fma_f16 v1, v1, 2.0, -v0
	v_fma_f16 v2, v2, 2.0, -v5
	v_fma_f16 v55, v48, s0, v54
	v_fma_f16 v3, v3, 2.0, -v14
	v_fma_f16 v11, v20, 2.0, -v4
	;; [unrolled: 1-line block ×4, first 2 shown]
	v_pack_b32_f16 v1, v1, v2
	v_fma_f16 v55, v50, s1, v55
	v_fma_f16 v59, v59, 2.0, -v22
	v_fma_f16 v17, v17, 2.0, -v18
	ds_write_b32 v45, v1
	v_pack_b32_f16 v1, v19, v7
	v_pack_b32_f16 v2, v3, v11
	v_fma_f16 v56, v54, 2.0, -v55
	ds_write2_b32 v36, v1, v2 offset0:22 offset1:44
	v_pack_b32_f16 v1, v59, v17
	v_pack_b32_f16 v2, v49, v31
	v_fma_f16 v26, v60, 2.0, -v24
	v_fma_f16 v28, v21, 2.0, -v25
	ds_write2_b32 v36, v1, v2 offset0:66 offset1:88
	v_pack_b32_f16 v1, v61, v62
	v_pack_b32_f16 v2, v53, v56
	ds_write2_b32 v36, v1, v2 offset0:110 offset1:132
	v_pack_b32_f16 v1, v26, v28
	v_pack_b32_f16 v0, v0, v5
	;; [unrolled: 3-line block ×4, first 2 shown]
	v_add_u32_e32 v2, 0x200, v36
	ds_write2_b32 v2, v0, v1 offset0:114 offset1:136
	v_pack_b32_f16 v0, v58, v51
	v_pack_b32_f16 v1, v52, v55
	v_add_u32_e32 v2, 0x400, v36
	ds_write2_b32 v2, v0, v1 offset0:30 offset1:52
	v_pack_b32_f16 v0, v24, v25
	ds_write_b32 v36, v0 offset:1320
.LBB0_17:
	s_or_b64 exec, exec, s[2:3]
	s_waitcnt lgkmcnt(0)
	; wave barrier
	s_waitcnt lgkmcnt(0)
	ds_read_b32 v0, v45
	ds_read_b32 v1, v36 offset:1280
	s_mov_b32 s2, 0x745d1746
	s_mov_b32 s3, 0x3f6745d1
	v_mad_u64_u32 v[4:5], s[0:1], s6, v15, 0
	s_waitcnt lgkmcnt(1)
	v_lshrrev_b32_e32 v7, 16, v0
	v_mul_f16_sdwa v2, v44, v7 dst_sel:DWORD dst_unused:UNUSED_PAD src0_sel:WORD_1 src1_sel:DWORD
	v_fma_f16 v2, v44, v0, v2
	v_cvt_f32_f16_e32 v2, v2
	v_mad_u64_u32 v[5:6], s[0:1], s7, v15, v[5:6]
	s_movk_i32 s7, 0x1ff
	v_cvt_f64_f32_e32 v[2:3], v2
	s_movk_i32 s6, 0xffe
	v_mul_f16_sdwa v0, v44, v0 dst_sel:DWORD dst_unused:UNUSED_PAD src0_sel:WORD_1 src1_sel:DWORD
	v_fma_f16 v0, v44, v7, -v0
	v_mul_f64 v[2:3], v[2:3], s[2:3]
	v_cvt_f32_f16_e32 v7, v0
	v_mov_b32_e32 v0, 0x7c00
	s_movk_i32 s8, 0x40f
	s_mov_b32 s9, 0x8000
	ds_read_b32 v11, v30 offset:640
	v_and_or_b32 v2, v3, s7, v2
	v_cmp_ne_u32_e32 vcc, 0, v2
	v_lshrrev_b32_e32 v6, 8, v3
	v_bfe_u32 v8, v3, 20, 11
	v_cndmask_b32_e64 v2, 0, 1, vcc
	v_and_or_b32 v2, v6, s6, v2
	v_sub_u32_e32 v9, 0x3f1, v8
	v_or_b32_e32 v6, 0x1000, v2
	v_med3_i32 v9, v9, 0, 13
	v_lshrrev_b32_e32 v10, v9, v6
	v_lshlrev_b32_e32 v9, v9, v10
	v_cmp_ne_u32_e32 vcc, v9, v6
	v_cndmask_b32_e64 v6, 0, 1, vcc
	v_add_u32_e32 v8, 0xfffffc10, v8
	v_or_b32_e32 v6, v10, v6
	v_lshl_or_b32 v9, v8, 12, v2
	v_cmp_gt_i32_e32 vcc, 1, v8
	v_cndmask_b32_e32 v6, v9, v6, vcc
	v_and_b32_e32 v9, 7, v6
	v_cmp_lt_i32_e32 vcc, 5, v9
	v_cmp_eq_u32_e64 s[0:1], 3, v9
	v_lshrrev_b32_e32 v6, 2, v6
	s_or_b64 vcc, s[0:1], vcc
	v_addc_co_u32_e32 v9, vcc, 0, v6, vcc
	v_cvt_f64_f32_e32 v[6:7], v7
	v_cmp_gt_i32_e32 vcc, 31, v8
	v_cndmask_b32_e32 v9, v0, v9, vcc
	v_cmp_ne_u32_e32 vcc, 0, v2
	v_mul_f64 v[6:7], v[6:7], s[2:3]
	v_cndmask_b32_e64 v2, 0, 1, vcc
	v_lshl_or_b32 v2, v2, 9, v0
	v_cmp_eq_u32_e32 vcc, s8, v8
	v_cndmask_b32_e32 v2, v9, v2, vcc
	v_lshrrev_b32_e32 v3, 16, v3
	v_and_or_b32 v10, v3, s9, v2
	v_and_b32_e32 v10, 0xffff, v10
	v_and_or_b32 v2, v7, s7, v6
	v_cmp_ne_u32_e32 vcc, 0, v2
	v_cndmask_b32_e64 v2, 0, 1, vcc
	v_lshrrev_b32_e32 v3, 8, v7
	v_bfe_u32 v6, v7, 20, 11
	v_and_or_b32 v2, v3, s6, v2
	v_sub_u32_e32 v8, 0x3f1, v6
	v_or_b32_e32 v3, 0x1000, v2
	v_med3_i32 v8, v8, 0, 13
	v_lshrrev_b32_e32 v9, v8, v3
	v_lshlrev_b32_e32 v8, v8, v9
	v_cmp_ne_u32_e32 vcc, v8, v3
	v_cndmask_b32_e64 v3, 0, 1, vcc
	v_add_u32_e32 v6, 0xfffffc10, v6
	v_or_b32_e32 v3, v9, v3
	v_lshl_or_b32 v8, v6, 12, v2
	v_cmp_gt_i32_e32 vcc, 1, v6
	v_cndmask_b32_e32 v3, v8, v3, vcc
	v_and_b32_e32 v8, 7, v3
	v_cmp_lt_i32_e32 vcc, 5, v8
	v_cmp_eq_u32_e64 s[0:1], 3, v8
	v_lshrrev_b32_e32 v3, 2, v3
	s_or_b64 vcc, s[0:1], vcc
	v_addc_co_u32_e32 v3, vcc, 0, v3, vcc
	v_cmp_gt_i32_e32 vcc, 31, v6
	v_cndmask_b32_e32 v8, v0, v3, vcc
	v_cmp_ne_u32_e32 vcc, 0, v2
	v_cndmask_b32_e64 v2, 0, 1, vcc
	v_lshl_or_b32 v9, v2, 9, v0
	v_cmp_eq_u32_e32 vcc, s8, v6
	v_cndmask_b32_e32 v12, v8, v9, vcc
	ds_read2_b32 v[8:9], v36 offset0:32 offset1:64
	v_mad_u64_u32 v[2:3], s[0:1], s4, v42, 0
	v_lshrrev_b32_e32 v13, 16, v7
	v_and_or_b32 v12, v13, s9, v12
	s_waitcnt lgkmcnt(0)
	v_lshrrev_b32_e32 v14, 16, v8
	v_mad_u64_u32 v[6:7], s[0:1], s5, v42, v[3:4]
	v_mul_f16_sdwa v3, v43, v14 dst_sel:DWORD dst_unused:UNUSED_PAD src0_sel:WORD_1 src1_sel:DWORD
	v_fma_f16 v3, v43, v8, v3
	v_cvt_f32_f16_e32 v7, v3
	v_mov_b32_e32 v3, v6
	v_lshlrev_b64 v[4:5], 2, v[4:5]
	v_lshl_or_b32 v10, v12, 16, v10
	v_cvt_f64_f32_e32 v[6:7], v7
	v_mov_b32_e32 v12, s13
	v_add_co_u32_e32 v4, vcc, s12, v4
	v_mul_f64 v[6:7], v[6:7], s[2:3]
	v_lshlrev_b64 v[2:3], 2, v[2:3]
	v_addc_co_u32_e32 v5, vcc, v12, v5, vcc
	v_add_co_u32_e32 v4, vcc, v4, v2
	v_addc_co_u32_e32 v5, vcc, v5, v3, vcc
	v_and_or_b32 v2, v7, s7, v6
	v_cmp_ne_u32_e32 vcc, 0, v2
	v_cndmask_b32_e64 v2, 0, 1, vcc
	v_lshrrev_b32_e32 v3, 8, v7
	v_and_or_b32 v6, v3, s6, v2
	v_bfe_u32 v3, v7, 20, 11
	global_store_dword v[4:5], v10, off
	v_sub_u32_e32 v10, 0x3f1, v3
	v_or_b32_e32 v2, 0x1000, v6
	v_med3_i32 v10, v10, 0, 13
	v_lshrrev_b32_e32 v12, v10, v2
	v_lshlrev_b32_e32 v10, v10, v12
	v_mul_f16_sdwa v8, v43, v8 dst_sel:DWORD dst_unused:UNUSED_PAD src0_sel:WORD_1 src1_sel:DWORD
	v_cmp_ne_u32_e32 vcc, v10, v2
	v_fma_f16 v8, v43, v14, -v8
	v_cndmask_b32_e64 v2, 0, 1, vcc
	v_add_u32_e32 v10, 0xfffffc10, v3
	v_cvt_f32_f16_e32 v8, v8
	v_or_b32_e32 v2, v12, v2
	v_lshl_or_b32 v3, v10, 12, v6
	v_cmp_gt_i32_e32 vcc, 1, v10
	v_cndmask_b32_e32 v2, v3, v2, vcc
	v_and_b32_e32 v3, 7, v2
	v_cmp_lt_i32_e32 vcc, 5, v3
	v_cmp_eq_u32_e64 s[0:1], 3, v3
	v_lshrrev_b32_e32 v12, 2, v2
	v_cvt_f64_f32_e32 v[2:3], v8
	s_or_b64 vcc, s[0:1], vcc
	v_addc_co_u32_e32 v8, vcc, 0, v12, vcc
	v_mul_f64 v[2:3], v[2:3], s[2:3]
	v_cmp_gt_i32_e32 vcc, 31, v10
	v_cndmask_b32_e32 v8, v0, v8, vcc
	v_cmp_ne_u32_e32 vcc, 0, v6
	v_cndmask_b32_e64 v6, 0, 1, vcc
	v_lshl_or_b32 v6, v6, 9, v0
	v_cmp_eq_u32_e32 vcc, s8, v10
	v_cndmask_b32_e32 v6, v8, v6, vcc
	v_and_or_b32 v2, v3, s7, v2
	v_lshrrev_b32_e32 v7, 16, v7
	v_cmp_ne_u32_e32 vcc, 0, v2
	v_and_or_b32 v6, v7, s9, v6
	v_cndmask_b32_e64 v2, 0, 1, vcc
	v_lshrrev_b32_e32 v7, 8, v3
	v_bfe_u32 v8, v3, 20, 11
	v_and_or_b32 v2, v7, s6, v2
	v_sub_u32_e32 v10, 0x3f1, v8
	v_or_b32_e32 v7, 0x1000, v2
	v_med3_i32 v10, v10, 0, 13
	v_lshrrev_b32_e32 v12, v10, v7
	v_lshlrev_b32_e32 v10, v10, v12
	v_cmp_ne_u32_e32 vcc, v10, v7
	v_cndmask_b32_e64 v7, 0, 1, vcc
	v_add_u32_e32 v8, 0xfffffc10, v8
	v_or_b32_e32 v7, v12, v7
	v_lshl_or_b32 v10, v8, 12, v2
	v_cmp_gt_i32_e32 vcc, 1, v8
	v_cndmask_b32_e32 v7, v10, v7, vcc
	v_and_b32_e32 v10, 7, v7
	v_cmp_lt_i32_e32 vcc, 5, v10
	v_cmp_eq_u32_e64 s[0:1], 3, v10
	v_lshrrev_b32_e32 v10, 16, v9
	v_lshrrev_b32_e32 v7, 2, v7
	s_or_b64 vcc, s[0:1], vcc
	v_mul_f16_sdwa v12, v41, v10 dst_sel:DWORD dst_unused:UNUSED_PAD src0_sel:WORD_1 src1_sel:DWORD
	v_addc_co_u32_e32 v7, vcc, 0, v7, vcc
	v_fma_f16 v12, v41, v9, v12
	v_cmp_gt_i32_e32 vcc, 31, v8
	v_cvt_f32_f16_e32 v12, v12
	v_cndmask_b32_e32 v7, v0, v7, vcc
	v_cmp_ne_u32_e32 vcc, 0, v2
	v_cndmask_b32_e64 v2, 0, 1, vcc
	v_lshl_or_b32 v2, v2, 9, v0
	v_cmp_eq_u32_e32 vcc, s8, v8
	v_cndmask_b32_e32 v7, v7, v2, vcc
	v_lshrrev_b32_e32 v8, 16, v3
	v_cvt_f64_f32_e32 v[2:3], v12
	v_and_or_b32 v7, v8, s9, v7
	v_and_b32_e32 v6, 0xffff, v6
	v_lshl_or_b32 v8, v7, 16, v6
	v_mul_f64 v[6:7], v[2:3], s[2:3]
	s_lshl_b64 s[4:5], s[4:5], 7
	v_mov_b32_e32 v2, s5
	v_add_co_u32_e32 v3, vcc, s4, v4
	v_addc_co_u32_e32 v4, vcc, v5, v2, vcc
	global_store_dword v[3:4], v8, off
	v_and_or_b32 v5, v7, s7, v6
	v_cmp_ne_u32_e32 vcc, 0, v5
	v_cndmask_b32_e64 v5, 0, 1, vcc
	v_lshrrev_b32_e32 v6, 8, v7
	v_and_or_b32 v8, v6, s6, v5
	v_bfe_u32 v6, v7, 20, 11
	v_sub_u32_e32 v12, 0x3f1, v6
	v_or_b32_e32 v5, 0x1000, v8
	v_med3_i32 v12, v12, 0, 13
	v_lshrrev_b32_e32 v13, v12, v5
	v_lshlrev_b32_e32 v12, v12, v13
	v_mul_f16_sdwa v9, v41, v9 dst_sel:DWORD dst_unused:UNUSED_PAD src0_sel:WORD_1 src1_sel:DWORD
	v_cmp_ne_u32_e32 vcc, v12, v5
	v_fma_f16 v9, v41, v10, -v9
	v_cndmask_b32_e64 v5, 0, 1, vcc
	v_add_u32_e32 v12, 0xfffffc10, v6
	v_cvt_f32_f16_e32 v9, v9
	v_or_b32_e32 v5, v13, v5
	v_lshl_or_b32 v6, v12, 12, v8
	v_cmp_gt_i32_e32 vcc, 1, v12
	v_cndmask_b32_e32 v5, v6, v5, vcc
	v_and_b32_e32 v6, 7, v5
	v_cmp_lt_i32_e32 vcc, 5, v6
	v_cmp_eq_u32_e64 s[0:1], 3, v6
	v_lshrrev_b32_e32 v10, 2, v5
	v_cvt_f64_f32_e32 v[5:6], v9
	s_or_b64 vcc, s[0:1], vcc
	v_addc_co_u32_e32 v9, vcc, 0, v10, vcc
	v_mul_f64 v[5:6], v[5:6], s[2:3]
	v_cmp_gt_i32_e32 vcc, 31, v12
	v_cndmask_b32_e32 v9, v0, v9, vcc
	v_cmp_ne_u32_e32 vcc, 0, v8
	v_cndmask_b32_e64 v8, 0, 1, vcc
	v_lshl_or_b32 v8, v8, 9, v0
	v_cmp_eq_u32_e32 vcc, s8, v12
	v_cndmask_b32_e32 v8, v9, v8, vcc
	v_and_or_b32 v5, v6, s7, v5
	v_lshrrev_b32_e32 v7, 16, v7
	v_cmp_ne_u32_e32 vcc, 0, v5
	v_and_or_b32 v12, v7, s9, v8
	v_cndmask_b32_e64 v5, 0, 1, vcc
	v_lshrrev_b32_e32 v7, 8, v6
	v_bfe_u32 v8, v6, 20, 11
	v_and_or_b32 v5, v7, s6, v5
	v_sub_u32_e32 v9, 0x3f1, v8
	v_or_b32_e32 v7, 0x1000, v5
	v_med3_i32 v9, v9, 0, 13
	v_lshrrev_b32_e32 v10, v9, v7
	v_lshlrev_b32_e32 v9, v9, v10
	v_cmp_ne_u32_e32 vcc, v9, v7
	v_cndmask_b32_e64 v7, 0, 1, vcc
	v_add_u32_e32 v13, 0xfffffc10, v8
	v_or_b32_e32 v7, v10, v7
	v_lshl_or_b32 v8, v13, 12, v5
	v_cmp_gt_i32_e32 vcc, 1, v13
	v_cndmask_b32_e32 v7, v8, v7, vcc
	v_and_b32_e32 v8, 7, v7
	v_cmp_lt_i32_e32 vcc, 5, v8
	v_cmp_eq_u32_e64 s[0:1], 3, v8
	v_lshrrev_b32_e32 v9, 2, v7
	ds_read2_b32 v[7:8], v36 offset0:96 offset1:128
	s_or_b64 vcc, s[0:1], vcc
	v_addc_co_u32_e32 v9, vcc, 0, v9, vcc
	v_cmp_gt_i32_e32 vcc, 31, v13
	s_waitcnt lgkmcnt(0)
	v_lshrrev_b32_e32 v15, 16, v7
	v_cndmask_b32_e32 v14, v0, v9, vcc
	v_mul_f16_sdwa v9, v40, v15 dst_sel:DWORD dst_unused:UNUSED_PAD src0_sel:WORD_1 src1_sel:DWORD
	v_fma_f16 v9, v40, v7, v9
	v_cvt_f32_f16_e32 v9, v9
	v_cmp_ne_u32_e32 vcc, 0, v5
	v_cndmask_b32_e64 v5, 0, 1, vcc
	v_lshl_or_b32 v5, v5, 9, v0
	v_cvt_f64_f32_e32 v[9:10], v9
	v_cmp_eq_u32_e32 vcc, s8, v13
	v_cndmask_b32_e32 v5, v14, v5, vcc
	v_lshrrev_b32_e32 v6, 16, v6
	v_and_or_b32 v13, v6, s9, v5
	v_mul_f64 v[5:6], v[9:10], s[2:3]
	v_add_co_u32_e32 v3, vcc, s4, v3
	v_and_b32_e32 v9, 0xffff, v12
	v_addc_co_u32_e32 v4, vcc, v4, v2, vcc
	v_lshl_or_b32 v9, v13, 16, v9
	global_store_dword v[3:4], v9, off
	v_and_or_b32 v5, v6, s7, v5
	v_cmp_ne_u32_e32 vcc, 0, v5
	v_cndmask_b32_e64 v5, 0, 1, vcc
	v_lshrrev_b32_e32 v9, 8, v6
	v_bfe_u32 v10, v6, 20, 11
	v_and_or_b32 v5, v9, s6, v5
	v_sub_u32_e32 v12, 0x3f1, v10
	v_or_b32_e32 v9, 0x1000, v5
	v_med3_i32 v12, v12, 0, 13
	v_lshrrev_b32_e32 v13, v12, v9
	v_lshlrev_b32_e32 v12, v12, v13
	v_mul_f16_sdwa v7, v40, v7 dst_sel:DWORD dst_unused:UNUSED_PAD src0_sel:WORD_1 src1_sel:DWORD
	v_cmp_ne_u32_e32 vcc, v12, v9
	v_fma_f16 v7, v40, v15, -v7
	v_cndmask_b32_e64 v9, 0, 1, vcc
	v_add_u32_e32 v12, 0xfffffc10, v10
	v_cvt_f32_f16_e32 v7, v7
	v_or_b32_e32 v9, v13, v9
	v_lshl_or_b32 v10, v12, 12, v5
	v_cmp_gt_i32_e32 vcc, 1, v12
	v_cndmask_b32_e32 v9, v10, v9, vcc
	v_and_b32_e32 v10, 7, v9
	v_cmp_lt_i32_e32 vcc, 5, v10
	v_cmp_eq_u32_e64 s[0:1], 3, v10
	v_lshrrev_b32_e32 v13, 2, v9
	v_cvt_f64_f32_e32 v[9:10], v7
	s_or_b64 vcc, s[0:1], vcc
	v_addc_co_u32_e32 v7, vcc, 0, v13, vcc
	v_mul_f64 v[9:10], v[9:10], s[2:3]
	v_cmp_gt_i32_e32 vcc, 31, v12
	v_cndmask_b32_e32 v7, v0, v7, vcc
	v_cmp_ne_u32_e32 vcc, 0, v5
	v_cndmask_b32_e64 v5, 0, 1, vcc
	v_lshl_or_b32 v5, v5, 9, v0
	v_cmp_eq_u32_e32 vcc, s8, v12
	v_cndmask_b32_e32 v5, v7, v5, vcc
	v_lshrrev_b32_e32 v6, 16, v6
	v_and_or_b32 v7, v6, s9, v5
	v_and_or_b32 v5, v10, s7, v9
	v_cmp_ne_u32_e32 vcc, 0, v5
	v_cndmask_b32_e64 v5, 0, 1, vcc
	v_lshrrev_b32_e32 v6, 8, v10
	v_bfe_u32 v9, v10, 20, 11
	v_and_or_b32 v5, v6, s6, v5
	v_sub_u32_e32 v12, 0x3f1, v9
	v_or_b32_e32 v6, 0x1000, v5
	v_med3_i32 v12, v12, 0, 13
	v_lshrrev_b32_e32 v13, v12, v6
	v_lshlrev_b32_e32 v12, v12, v13
	v_cmp_ne_u32_e32 vcc, v12, v6
	v_cndmask_b32_e64 v6, 0, 1, vcc
	v_add_u32_e32 v9, 0xfffffc10, v9
	v_or_b32_e32 v6, v13, v6
	v_lshl_or_b32 v12, v9, 12, v5
	v_cmp_gt_i32_e32 vcc, 1, v9
	v_cndmask_b32_e32 v6, v12, v6, vcc
	v_and_b32_e32 v12, 7, v6
	v_cmp_lt_i32_e32 vcc, 5, v12
	v_cmp_eq_u32_e64 s[0:1], 3, v12
	v_lshrrev_b32_e32 v6, 2, v6
	s_or_b64 vcc, s[0:1], vcc
	v_addc_co_u32_e32 v6, vcc, 0, v6, vcc
	v_cmp_gt_i32_e32 vcc, 31, v9
	v_lshrrev_b32_e32 v13, 16, v8
	v_cndmask_b32_e32 v12, v0, v6, vcc
	v_mul_f16_sdwa v6, v39, v13 dst_sel:DWORD dst_unused:UNUSED_PAD src0_sel:WORD_1 src1_sel:DWORD
	v_fma_f16 v6, v39, v8, v6
	v_cvt_f32_f16_e32 v6, v6
	v_cmp_ne_u32_e32 vcc, 0, v5
	v_cndmask_b32_e64 v5, 0, 1, vcc
	v_lshl_or_b32 v14, v5, 9, v0
	v_cvt_f64_f32_e32 v[5:6], v6
	v_cmp_eq_u32_e32 vcc, s8, v9
	v_cndmask_b32_e32 v9, v12, v14, vcc
	v_lshrrev_b32_e32 v10, 16, v10
	v_mul_f64 v[5:6], v[5:6], s[2:3]
	v_add_co_u32_e32 v3, vcc, s4, v3
	v_and_or_b32 v9, v10, s9, v9
	v_and_b32_e32 v7, 0xffff, v7
	v_addc_co_u32_e32 v4, vcc, v4, v2, vcc
	v_lshl_or_b32 v7, v9, 16, v7
	v_and_or_b32 v5, v6, s7, v5
	v_cmp_ne_u32_e32 vcc, 0, v5
	global_store_dword v[3:4], v7, off
	v_cndmask_b32_e64 v5, 0, 1, vcc
	v_lshrrev_b32_e32 v7, 8, v6
	v_bfe_u32 v9, v6, 20, 11
	v_and_or_b32 v5, v7, s6, v5
	v_sub_u32_e32 v10, 0x3f1, v9
	v_or_b32_e32 v7, 0x1000, v5
	v_med3_i32 v10, v10, 0, 13
	v_lshrrev_b32_e32 v12, v10, v7
	v_lshlrev_b32_e32 v10, v10, v12
	v_mul_f16_sdwa v8, v39, v8 dst_sel:DWORD dst_unused:UNUSED_PAD src0_sel:WORD_1 src1_sel:DWORD
	v_cmp_ne_u32_e32 vcc, v10, v7
	v_fma_f16 v8, v39, v13, -v8
	v_cndmask_b32_e64 v7, 0, 1, vcc
	v_add_u32_e32 v9, 0xfffffc10, v9
	v_cvt_f32_f16_e32 v8, v8
	v_or_b32_e32 v7, v12, v7
	v_lshl_or_b32 v10, v9, 12, v5
	v_cmp_gt_i32_e32 vcc, 1, v9
	v_cndmask_b32_e32 v7, v10, v7, vcc
	v_and_b32_e32 v10, 7, v7
	v_cmp_lt_i32_e32 vcc, 5, v10
	v_cmp_eq_u32_e64 s[0:1], 3, v10
	v_lshrrev_b32_e32 v10, 2, v7
	v_cvt_f64_f32_e32 v[7:8], v8
	s_or_b64 vcc, s[0:1], vcc
	v_addc_co_u32_e32 v10, vcc, 0, v10, vcc
	v_mul_f64 v[7:8], v[7:8], s[2:3]
	v_cmp_gt_i32_e32 vcc, 31, v9
	v_cndmask_b32_e32 v10, v0, v10, vcc
	v_cmp_ne_u32_e32 vcc, 0, v5
	v_cndmask_b32_e64 v5, 0, 1, vcc
	v_lshl_or_b32 v5, v5, 9, v0
	v_cmp_eq_u32_e32 vcc, s8, v9
	v_cndmask_b32_e32 v5, v10, v5, vcc
	v_lshrrev_b32_e32 v6, 16, v6
	v_and_or_b32 v9, v6, s9, v5
	v_and_or_b32 v5, v8, s7, v7
	v_cmp_ne_u32_e32 vcc, 0, v5
	v_cndmask_b32_e64 v5, 0, 1, vcc
	v_lshrrev_b32_e32 v6, 8, v8
	v_bfe_u32 v7, v8, 20, 11
	v_and_or_b32 v5, v6, s6, v5
	v_sub_u32_e32 v10, 0x3f1, v7
	v_or_b32_e32 v6, 0x1000, v5
	v_med3_i32 v10, v10, 0, 13
	v_lshrrev_b32_e32 v12, v10, v6
	v_lshlrev_b32_e32 v10, v10, v12
	v_cmp_ne_u32_e32 vcc, v10, v6
	v_cndmask_b32_e64 v6, 0, 1, vcc
	v_add_u32_e32 v7, 0xfffffc10, v7
	v_or_b32_e32 v6, v12, v6
	v_lshl_or_b32 v10, v7, 12, v5
	v_cmp_gt_i32_e32 vcc, 1, v7
	v_cndmask_b32_e32 v6, v10, v6, vcc
	v_and_b32_e32 v10, 7, v6
	v_cmp_lt_i32_e32 vcc, 5, v10
	v_cmp_eq_u32_e64 s[0:1], 3, v10
	v_lshrrev_b32_e32 v6, 2, v6
	s_or_b64 vcc, s[0:1], vcc
	v_addc_co_u32_e32 v6, vcc, 0, v6, vcc
	v_cmp_gt_i32_e32 vcc, 31, v7
	v_lshrrev_b32_e32 v12, 16, v11
	v_cndmask_b32_e32 v10, v0, v6, vcc
	v_mul_f16_sdwa v6, v38, v12 dst_sel:DWORD dst_unused:UNUSED_PAD src0_sel:WORD_1 src1_sel:DWORD
	v_fma_f16 v6, v38, v11, v6
	v_cvt_f32_f16_e32 v6, v6
	v_cmp_ne_u32_e32 vcc, 0, v5
	v_cndmask_b32_e64 v5, 0, 1, vcc
	v_lshl_or_b32 v13, v5, 9, v0
	v_cvt_f64_f32_e32 v[5:6], v6
	v_cmp_eq_u32_e32 vcc, s8, v7
	v_cndmask_b32_e32 v7, v10, v13, vcc
	v_lshrrev_b32_e32 v8, 16, v8
	v_mul_f64 v[5:6], v[5:6], s[2:3]
	v_add_co_u32_e32 v3, vcc, s4, v3
	v_and_or_b32 v7, v8, s9, v7
	v_and_b32_e32 v8, 0xffff, v9
	v_addc_co_u32_e32 v4, vcc, v4, v2, vcc
	v_lshl_or_b32 v7, v7, 16, v8
	v_and_or_b32 v5, v6, s7, v5
	v_cmp_ne_u32_e32 vcc, 0, v5
	global_store_dword v[3:4], v7, off
	v_cndmask_b32_e64 v5, 0, 1, vcc
	v_lshrrev_b32_e32 v7, 8, v6
	v_bfe_u32 v8, v6, 20, 11
	v_and_or_b32 v5, v7, s6, v5
	v_sub_u32_e32 v9, 0x3f1, v8
	v_or_b32_e32 v7, 0x1000, v5
	v_med3_i32 v9, v9, 0, 13
	v_lshrrev_b32_e32 v10, v9, v7
	v_lshlrev_b32_e32 v9, v9, v10
	v_cmp_ne_u32_e32 vcc, v9, v7
	v_cndmask_b32_e64 v7, 0, 1, vcc
	v_or_b32_e32 v7, v10, v7
	v_mul_f16_sdwa v10, v38, v11 dst_sel:DWORD dst_unused:UNUSED_PAD src0_sel:WORD_1 src1_sel:DWORD
	v_fma_f16 v10, v38, v12, -v10
	v_add_u32_e32 v9, 0xfffffc10, v8
	v_cvt_f32_f16_e32 v10, v10
	v_lshl_or_b32 v8, v9, 12, v5
	v_cmp_gt_i32_e32 vcc, 1, v9
	v_cndmask_b32_e32 v7, v8, v7, vcc
	v_and_b32_e32 v8, 7, v7
	v_cmp_lt_i32_e32 vcc, 5, v8
	v_cmp_eq_u32_e64 s[0:1], 3, v8
	v_lshrrev_b32_e32 v11, 2, v7
	v_cvt_f64_f32_e32 v[7:8], v10
	s_or_b64 vcc, s[0:1], vcc
	v_addc_co_u32_e32 v10, vcc, 0, v11, vcc
	v_mul_f64 v[7:8], v[7:8], s[2:3]
	v_cmp_gt_i32_e32 vcc, 31, v9
	v_cndmask_b32_e32 v10, v0, v10, vcc
	v_cmp_ne_u32_e32 vcc, 0, v5
	v_cndmask_b32_e64 v5, 0, 1, vcc
	v_lshl_or_b32 v5, v5, 9, v0
	v_cmp_eq_u32_e32 vcc, s8, v9
	v_cndmask_b32_e32 v5, v10, v5, vcc
	v_lshrrev_b32_e32 v6, 16, v6
	v_and_or_b32 v11, v6, s9, v5
	v_and_or_b32 v5, v8, s7, v7
	v_cmp_ne_u32_e32 vcc, 0, v5
	v_cndmask_b32_e64 v5, 0, 1, vcc
	v_lshrrev_b32_e32 v6, 8, v8
	v_and_or_b32 v7, v6, s6, v5
	v_bfe_u32 v6, v8, 20, 11
	v_sub_u32_e32 v9, 0x3f1, v6
	v_or_b32_e32 v5, 0x1000, v7
	v_med3_i32 v9, v9, 0, 13
	v_lshrrev_b32_e32 v10, v9, v5
	v_lshlrev_b32_e32 v9, v9, v10
	v_cmp_ne_u32_e32 vcc, v9, v5
	v_cndmask_b32_e64 v5, 0, 1, vcc
	v_add_u32_e32 v12, 0xfffffc10, v6
	v_or_b32_e32 v5, v10, v5
	v_lshl_or_b32 v6, v12, 12, v7
	v_cmp_gt_i32_e32 vcc, 1, v12
	v_cndmask_b32_e32 v5, v6, v5, vcc
	v_and_b32_e32 v6, 7, v5
	v_cmp_lt_i32_e32 vcc, 5, v6
	v_cmp_eq_u32_e64 s[0:1], 3, v6
	v_lshrrev_b32_e32 v9, 2, v5
	ds_read2_b32 v[5:6], v36 offset0:192 offset1:224
	s_or_b64 vcc, s[0:1], vcc
	v_addc_co_u32_e32 v9, vcc, 0, v9, vcc
	v_cmp_gt_i32_e32 vcc, 31, v12
	s_waitcnt lgkmcnt(0)
	v_lshrrev_b32_e32 v14, 16, v5
	v_cndmask_b32_e32 v13, v0, v9, vcc
	v_mul_f16_sdwa v9, v37, v14 dst_sel:DWORD dst_unused:UNUSED_PAD src0_sel:WORD_1 src1_sel:DWORD
	v_fma_f16 v9, v37, v5, v9
	v_cvt_f32_f16_e32 v9, v9
	v_cmp_ne_u32_e32 vcc, 0, v7
	v_cndmask_b32_e64 v7, 0, 1, vcc
	v_lshl_or_b32 v7, v7, 9, v0
	v_cvt_f64_f32_e32 v[9:10], v9
	v_cmp_eq_u32_e32 vcc, s8, v12
	v_cndmask_b32_e32 v7, v13, v7, vcc
	v_lshrrev_b32_e32 v8, 16, v8
	v_and_or_b32 v12, v8, s9, v7
	v_mul_f64 v[7:8], v[9:10], s[2:3]
	v_add_co_u32_e32 v3, vcc, s4, v3
	v_and_b32_e32 v9, 0xffff, v11
	v_addc_co_u32_e32 v4, vcc, v4, v2, vcc
	v_lshl_or_b32 v9, v12, 16, v9
	global_store_dword v[3:4], v9, off
	v_and_or_b32 v7, v8, s7, v7
	v_cmp_ne_u32_e32 vcc, 0, v7
	v_cndmask_b32_e64 v7, 0, 1, vcc
	v_lshrrev_b32_e32 v9, 8, v8
	v_bfe_u32 v10, v8, 20, 11
	v_and_or_b32 v7, v9, s6, v7
	v_sub_u32_e32 v11, 0x3f1, v10
	v_or_b32_e32 v9, 0x1000, v7
	v_med3_i32 v11, v11, 0, 13
	v_lshrrev_b32_e32 v12, v11, v9
	v_lshlrev_b32_e32 v11, v11, v12
	v_mul_f16_sdwa v5, v37, v5 dst_sel:DWORD dst_unused:UNUSED_PAD src0_sel:WORD_1 src1_sel:DWORD
	v_cmp_ne_u32_e32 vcc, v11, v9
	v_fma_f16 v5, v37, v14, -v5
	v_cndmask_b32_e64 v9, 0, 1, vcc
	v_add_u32_e32 v11, 0xfffffc10, v10
	v_cvt_f32_f16_e32 v5, v5
	v_or_b32_e32 v9, v12, v9
	v_lshl_or_b32 v10, v11, 12, v7
	v_cmp_gt_i32_e32 vcc, 1, v11
	v_cndmask_b32_e32 v9, v10, v9, vcc
	v_and_b32_e32 v10, 7, v9
	v_cmp_lt_i32_e32 vcc, 5, v10
	v_cmp_eq_u32_e64 s[0:1], 3, v10
	v_lshrrev_b32_e32 v12, 2, v9
	v_cvt_f64_f32_e32 v[9:10], v5
	s_or_b64 vcc, s[0:1], vcc
	v_addc_co_u32_e32 v5, vcc, 0, v12, vcc
	v_mul_f64 v[9:10], v[9:10], s[2:3]
	v_cmp_gt_i32_e32 vcc, 31, v11
	v_cndmask_b32_e32 v5, v0, v5, vcc
	v_cmp_ne_u32_e32 vcc, 0, v7
	v_cndmask_b32_e64 v7, 0, 1, vcc
	v_lshl_or_b32 v7, v7, 9, v0
	v_cmp_eq_u32_e32 vcc, s8, v11
	v_cndmask_b32_e32 v5, v5, v7, vcc
	v_lshrrev_b32_e32 v7, 16, v8
	v_and_or_b32 v5, v7, s9, v5
	v_and_or_b32 v7, v10, s7, v9
	v_cmp_ne_u32_e32 vcc, 0, v7
	v_cndmask_b32_e64 v7, 0, 1, vcc
	v_lshrrev_b32_e32 v8, 8, v10
	v_bfe_u32 v9, v10, 20, 11
	v_and_or_b32 v7, v8, s6, v7
	v_sub_u32_e32 v11, 0x3f1, v9
	v_or_b32_e32 v8, 0x1000, v7
	v_med3_i32 v11, v11, 0, 13
	v_lshrrev_b32_e32 v12, v11, v8
	v_lshlrev_b32_e32 v11, v11, v12
	v_cmp_ne_u32_e32 vcc, v11, v8
	v_cndmask_b32_e64 v8, 0, 1, vcc
	v_add_u32_e32 v9, 0xfffffc10, v9
	v_or_b32_e32 v8, v12, v8
	v_lshl_or_b32 v11, v9, 12, v7
	v_cmp_gt_i32_e32 vcc, 1, v9
	v_cndmask_b32_e32 v8, v11, v8, vcc
	v_and_b32_e32 v11, 7, v8
	v_cmp_lt_i32_e32 vcc, 5, v11
	v_cmp_eq_u32_e64 s[0:1], 3, v11
	v_lshrrev_b32_e32 v8, 2, v8
	s_or_b64 vcc, s[0:1], vcc
	v_addc_co_u32_e32 v8, vcc, 0, v8, vcc
	v_cmp_gt_i32_e32 vcc, 31, v9
	v_lshrrev_b32_e32 v12, 16, v6
	v_cndmask_b32_e32 v11, v0, v8, vcc
	v_mul_f16_sdwa v8, v35, v12 dst_sel:DWORD dst_unused:UNUSED_PAD src0_sel:WORD_1 src1_sel:DWORD
	v_fma_f16 v8, v35, v6, v8
	v_cvt_f32_f16_e32 v8, v8
	v_cmp_ne_u32_e32 vcc, 0, v7
	v_cndmask_b32_e64 v7, 0, 1, vcc
	v_lshl_or_b32 v13, v7, 9, v0
	v_cvt_f64_f32_e32 v[7:8], v8
	v_cmp_eq_u32_e32 vcc, s8, v9
	v_cndmask_b32_e32 v9, v11, v13, vcc
	v_lshrrev_b32_e32 v10, 16, v10
	v_mul_f64 v[7:8], v[7:8], s[2:3]
	v_and_or_b32 v9, v10, s9, v9
	v_and_b32_e32 v5, 0xffff, v5
	v_add_co_u32_e32 v3, vcc, s4, v3
	v_lshl_or_b32 v5, v9, 16, v5
	v_addc_co_u32_e32 v4, vcc, v4, v2, vcc
	global_store_dword v[3:4], v5, off
	v_and_or_b32 v5, v8, s7, v7
	v_cmp_ne_u32_e32 vcc, 0, v5
	v_cndmask_b32_e64 v5, 0, 1, vcc
	v_lshrrev_b32_e32 v7, 8, v8
	v_bfe_u32 v9, v8, 20, 11
	v_and_or_b32 v7, v7, s6, v5
	v_sub_u32_e32 v10, 0x3f1, v9
	v_or_b32_e32 v5, 0x1000, v7
	v_med3_i32 v10, v10, 0, 13
	v_lshrrev_b32_e32 v11, v10, v5
	v_lshlrev_b32_e32 v10, v10, v11
	v_mul_f16_sdwa v6, v35, v6 dst_sel:DWORD dst_unused:UNUSED_PAD src0_sel:WORD_1 src1_sel:DWORD
	v_cmp_ne_u32_e32 vcc, v10, v5
	v_fma_f16 v6, v35, v12, -v6
	v_cndmask_b32_e64 v5, 0, 1, vcc
	v_add_u32_e32 v9, 0xfffffc10, v9
	v_cvt_f32_f16_e32 v6, v6
	v_or_b32_e32 v5, v11, v5
	v_lshl_or_b32 v10, v9, 12, v7
	v_cmp_gt_i32_e32 vcc, 1, v9
	v_cndmask_b32_e32 v5, v10, v5, vcc
	v_and_b32_e32 v10, 7, v5
	v_cmp_lt_i32_e32 vcc, 5, v10
	v_cmp_eq_u32_e64 s[0:1], 3, v10
	v_lshrrev_b32_e32 v10, 2, v5
	v_cvt_f64_f32_e32 v[5:6], v6
	s_or_b64 vcc, s[0:1], vcc
	v_addc_co_u32_e32 v10, vcc, 0, v10, vcc
	v_mul_f64 v[5:6], v[5:6], s[2:3]
	v_cmp_gt_i32_e32 vcc, 31, v9
	v_cndmask_b32_e32 v10, v0, v10, vcc
	v_cmp_ne_u32_e32 vcc, 0, v7
	v_cndmask_b32_e64 v7, 0, 1, vcc
	v_lshl_or_b32 v7, v7, 9, v0
	v_cmp_eq_u32_e32 vcc, s8, v9
	v_cndmask_b32_e32 v7, v10, v7, vcc
	v_and_or_b32 v5, v6, s7, v5
	v_lshrrev_b32_e32 v8, 16, v8
	v_cmp_ne_u32_e32 vcc, 0, v5
	v_and_or_b32 v11, v8, s9, v7
	v_cndmask_b32_e64 v5, 0, 1, vcc
	v_lshrrev_b32_e32 v7, 8, v6
	v_bfe_u32 v8, v6, 20, 11
	v_and_or_b32 v5, v7, s6, v5
	v_sub_u32_e32 v9, 0x3f1, v8
	v_or_b32_e32 v7, 0x1000, v5
	v_med3_i32 v9, v9, 0, 13
	v_lshrrev_b32_e32 v10, v9, v7
	v_lshlrev_b32_e32 v9, v9, v10
	v_cmp_ne_u32_e32 vcc, v9, v7
	v_cndmask_b32_e64 v7, 0, 1, vcc
	v_add_u32_e32 v12, 0xfffffc10, v8
	v_or_b32_e32 v7, v10, v7
	v_lshl_or_b32 v8, v12, 12, v5
	v_cmp_gt_i32_e32 vcc, 1, v12
	v_cndmask_b32_e32 v7, v8, v7, vcc
	v_and_b32_e32 v8, 7, v7
	v_lshrrev_b32_e32 v9, 2, v7
	v_add_u32_e32 v7, 0x400, v36
	v_cmp_lt_i32_e32 vcc, 5, v8
	v_cmp_eq_u32_e64 s[0:1], 3, v8
	ds_read2_b32 v[7:8], v7 offset1:32
	s_or_b64 vcc, s[0:1], vcc
	v_addc_co_u32_e32 v9, vcc, 0, v9, vcc
	v_cmp_gt_i32_e32 vcc, 31, v12
	s_waitcnt lgkmcnt(0)
	v_lshrrev_b32_e32 v14, 16, v7
	v_cndmask_b32_e32 v13, v0, v9, vcc
	v_mul_f16_sdwa v9, v34, v14 dst_sel:DWORD dst_unused:UNUSED_PAD src0_sel:WORD_1 src1_sel:DWORD
	v_fma_f16 v9, v34, v7, v9
	v_cvt_f32_f16_e32 v9, v9
	v_cmp_ne_u32_e32 vcc, 0, v5
	v_cndmask_b32_e64 v5, 0, 1, vcc
	v_lshl_or_b32 v5, v5, 9, v0
	v_cvt_f64_f32_e32 v[9:10], v9
	v_cmp_eq_u32_e32 vcc, s8, v12
	v_cndmask_b32_e32 v5, v13, v5, vcc
	v_lshrrev_b32_e32 v6, 16, v6
	v_and_or_b32 v12, v6, s9, v5
	v_mul_f64 v[5:6], v[9:10], s[2:3]
	v_add_co_u32_e32 v3, vcc, s4, v3
	v_and_b32_e32 v9, 0xffff, v11
	v_addc_co_u32_e32 v4, vcc, v4, v2, vcc
	v_lshl_or_b32 v9, v12, 16, v9
	global_store_dword v[3:4], v9, off
	v_and_or_b32 v5, v6, s7, v5
	v_cmp_ne_u32_e32 vcc, 0, v5
	v_cndmask_b32_e64 v5, 0, 1, vcc
	v_lshrrev_b32_e32 v9, 8, v6
	v_bfe_u32 v10, v6, 20, 11
	v_and_or_b32 v5, v9, s6, v5
	v_sub_u32_e32 v11, 0x3f1, v10
	v_or_b32_e32 v9, 0x1000, v5
	v_med3_i32 v11, v11, 0, 13
	v_lshrrev_b32_e32 v12, v11, v9
	v_lshlrev_b32_e32 v11, v11, v12
	v_mul_f16_sdwa v7, v34, v7 dst_sel:DWORD dst_unused:UNUSED_PAD src0_sel:WORD_1 src1_sel:DWORD
	v_cmp_ne_u32_e32 vcc, v11, v9
	v_fma_f16 v7, v34, v14, -v7
	v_cndmask_b32_e64 v9, 0, 1, vcc
	v_add_u32_e32 v11, 0xfffffc10, v10
	v_cvt_f32_f16_e32 v7, v7
	v_or_b32_e32 v9, v12, v9
	v_lshl_or_b32 v10, v11, 12, v5
	v_cmp_gt_i32_e32 vcc, 1, v11
	v_cndmask_b32_e32 v9, v10, v9, vcc
	v_and_b32_e32 v10, 7, v9
	v_cmp_lt_i32_e32 vcc, 5, v10
	v_cmp_eq_u32_e64 s[0:1], 3, v10
	v_lshrrev_b32_e32 v12, 2, v9
	v_cvt_f64_f32_e32 v[9:10], v7
	s_or_b64 vcc, s[0:1], vcc
	v_addc_co_u32_e32 v7, vcc, 0, v12, vcc
	v_mul_f64 v[9:10], v[9:10], s[2:3]
	v_cmp_gt_i32_e32 vcc, 31, v11
	v_cndmask_b32_e32 v7, v0, v7, vcc
	v_cmp_ne_u32_e32 vcc, 0, v5
	v_cndmask_b32_e64 v5, 0, 1, vcc
	v_lshl_or_b32 v5, v5, 9, v0
	v_cmp_eq_u32_e32 vcc, s8, v11
	v_cndmask_b32_e32 v5, v7, v5, vcc
	v_lshrrev_b32_e32 v6, 16, v6
	v_and_or_b32 v7, v6, s9, v5
	v_and_or_b32 v5, v10, s7, v9
	v_cmp_ne_u32_e32 vcc, 0, v5
	v_cndmask_b32_e64 v5, 0, 1, vcc
	v_lshrrev_b32_e32 v6, 8, v10
	v_bfe_u32 v9, v10, 20, 11
	v_and_or_b32 v5, v6, s6, v5
	v_sub_u32_e32 v11, 0x3f1, v9
	v_or_b32_e32 v6, 0x1000, v5
	v_med3_i32 v11, v11, 0, 13
	v_lshrrev_b32_e32 v12, v11, v6
	v_lshlrev_b32_e32 v11, v11, v12
	v_cmp_ne_u32_e32 vcc, v11, v6
	v_cndmask_b32_e64 v6, 0, 1, vcc
	v_add_u32_e32 v9, 0xfffffc10, v9
	v_or_b32_e32 v6, v12, v6
	v_lshl_or_b32 v11, v9, 12, v5
	v_cmp_gt_i32_e32 vcc, 1, v9
	v_cndmask_b32_e32 v6, v11, v6, vcc
	v_and_b32_e32 v11, 7, v6
	v_cmp_lt_i32_e32 vcc, 5, v11
	v_cmp_eq_u32_e64 s[0:1], 3, v11
	v_lshrrev_b32_e32 v6, 2, v6
	s_or_b64 vcc, s[0:1], vcc
	v_addc_co_u32_e32 v6, vcc, 0, v6, vcc
	v_cmp_gt_i32_e32 vcc, 31, v9
	v_lshrrev_b32_e32 v12, 16, v8
	v_cndmask_b32_e32 v11, v0, v6, vcc
	v_mul_f16_sdwa v6, v33, v12 dst_sel:DWORD dst_unused:UNUSED_PAD src0_sel:WORD_1 src1_sel:DWORD
	v_fma_f16 v6, v33, v8, v6
	v_cvt_f32_f16_e32 v6, v6
	v_cmp_ne_u32_e32 vcc, 0, v5
	v_cndmask_b32_e64 v5, 0, 1, vcc
	v_lshl_or_b32 v13, v5, 9, v0
	v_cvt_f64_f32_e32 v[5:6], v6
	v_cmp_eq_u32_e32 vcc, s8, v9
	v_cndmask_b32_e32 v9, v11, v13, vcc
	v_lshrrev_b32_e32 v10, 16, v10
	v_mul_f64 v[5:6], v[5:6], s[2:3]
	v_add_co_u32_e32 v3, vcc, s4, v3
	v_and_or_b32 v9, v10, s9, v9
	v_and_b32_e32 v7, 0xffff, v7
	v_addc_co_u32_e32 v4, vcc, v4, v2, vcc
	v_lshl_or_b32 v7, v9, 16, v7
	v_and_or_b32 v5, v6, s7, v5
	v_cmp_ne_u32_e32 vcc, 0, v5
	global_store_dword v[3:4], v7, off
	v_cndmask_b32_e64 v5, 0, 1, vcc
	v_lshrrev_b32_e32 v7, 8, v6
	v_bfe_u32 v9, v6, 20, 11
	v_and_or_b32 v5, v7, s6, v5
	v_sub_u32_e32 v10, 0x3f1, v9
	v_or_b32_e32 v7, 0x1000, v5
	v_med3_i32 v10, v10, 0, 13
	v_lshrrev_b32_e32 v11, v10, v7
	v_lshlrev_b32_e32 v10, v10, v11
	v_mul_f16_sdwa v8, v33, v8 dst_sel:DWORD dst_unused:UNUSED_PAD src0_sel:WORD_1 src1_sel:DWORD
	v_cmp_ne_u32_e32 vcc, v10, v7
	v_fma_f16 v8, v33, v12, -v8
	v_cndmask_b32_e64 v7, 0, 1, vcc
	v_add_u32_e32 v9, 0xfffffc10, v9
	v_cvt_f32_f16_e32 v8, v8
	v_or_b32_e32 v7, v11, v7
	v_lshl_or_b32 v10, v9, 12, v5
	v_cmp_gt_i32_e32 vcc, 1, v9
	v_cndmask_b32_e32 v7, v10, v7, vcc
	v_and_b32_e32 v10, 7, v7
	v_cmp_lt_i32_e32 vcc, 5, v10
	v_cmp_eq_u32_e64 s[0:1], 3, v10
	v_lshrrev_b32_e32 v10, 2, v7
	v_cvt_f64_f32_e32 v[7:8], v8
	s_or_b64 vcc, s[0:1], vcc
	v_addc_co_u32_e32 v10, vcc, 0, v10, vcc
	v_mul_f64 v[7:8], v[7:8], s[2:3]
	v_cmp_gt_i32_e32 vcc, 31, v9
	v_cndmask_b32_e32 v10, v0, v10, vcc
	v_cmp_ne_u32_e32 vcc, 0, v5
	v_cndmask_b32_e64 v5, 0, 1, vcc
	v_lshl_or_b32 v5, v5, 9, v0
	v_cmp_eq_u32_e32 vcc, s8, v9
	v_cndmask_b32_e32 v5, v10, v5, vcc
	v_lshrrev_b32_e32 v6, 16, v6
	v_and_or_b32 v9, v6, s9, v5
	v_and_or_b32 v5, v8, s7, v7
	v_cmp_ne_u32_e32 vcc, 0, v5
	v_cndmask_b32_e64 v5, 0, 1, vcc
	v_lshrrev_b32_e32 v6, 8, v8
	v_bfe_u32 v7, v8, 20, 11
	v_and_or_b32 v5, v6, s6, v5
	v_sub_u32_e32 v10, 0x3f1, v7
	v_or_b32_e32 v6, 0x1000, v5
	v_med3_i32 v10, v10, 0, 13
	v_lshrrev_b32_e32 v11, v10, v6
	v_lshlrev_b32_e32 v10, v10, v11
	v_cmp_ne_u32_e32 vcc, v10, v6
	v_cndmask_b32_e64 v6, 0, 1, vcc
	v_add_u32_e32 v7, 0xfffffc10, v7
	v_or_b32_e32 v6, v11, v6
	v_lshl_or_b32 v10, v7, 12, v5
	v_cmp_gt_i32_e32 vcc, 1, v7
	v_cndmask_b32_e32 v6, v10, v6, vcc
	v_and_b32_e32 v10, 7, v6
	v_cmp_lt_i32_e32 vcc, 5, v10
	v_cmp_eq_u32_e64 s[0:1], 3, v10
	v_lshrrev_b32_e32 v6, 2, v6
	s_or_b64 vcc, s[0:1], vcc
	v_addc_co_u32_e32 v6, vcc, 0, v6, vcc
	v_cmp_gt_i32_e32 vcc, 31, v7
	v_lshrrev_b32_e32 v11, 16, v1
	v_cndmask_b32_e32 v10, v0, v6, vcc
	v_mul_f16_sdwa v6, v32, v11 dst_sel:DWORD dst_unused:UNUSED_PAD src0_sel:WORD_1 src1_sel:DWORD
	v_fma_f16 v6, v32, v1, v6
	v_cvt_f32_f16_e32 v6, v6
	v_cmp_ne_u32_e32 vcc, 0, v5
	v_cndmask_b32_e64 v5, 0, 1, vcc
	v_lshl_or_b32 v12, v5, 9, v0
	v_cvt_f64_f32_e32 v[5:6], v6
	v_cmp_eq_u32_e32 vcc, s8, v7
	v_cndmask_b32_e32 v7, v10, v12, vcc
	v_lshrrev_b32_e32 v8, 16, v8
	v_mul_f64 v[5:6], v[5:6], s[2:3]
	v_add_co_u32_e32 v3, vcc, s4, v3
	v_and_or_b32 v7, v8, s9, v7
	v_and_b32_e32 v8, 0xffff, v9
	v_addc_co_u32_e32 v4, vcc, v4, v2, vcc
	v_lshl_or_b32 v7, v7, 16, v8
	v_and_or_b32 v5, v6, s7, v5
	v_cmp_ne_u32_e32 vcc, 0, v5
	global_store_dword v[3:4], v7, off
	v_cndmask_b32_e64 v5, 0, 1, vcc
	v_lshrrev_b32_e32 v7, 8, v6
	v_bfe_u32 v8, v6, 20, 11
	v_and_or_b32 v5, v7, s6, v5
	v_sub_u32_e32 v9, 0x3f1, v8
	v_or_b32_e32 v7, 0x1000, v5
	v_med3_i32 v9, v9, 0, 13
	v_lshrrev_b32_e32 v10, v9, v7
	v_lshlrev_b32_e32 v9, v9, v10
	v_mul_f16_sdwa v1, v32, v1 dst_sel:DWORD dst_unused:UNUSED_PAD src0_sel:WORD_1 src1_sel:DWORD
	v_cmp_ne_u32_e32 vcc, v9, v7
	v_fma_f16 v1, v32, v11, -v1
	v_cndmask_b32_e64 v7, 0, 1, vcc
	v_add_u32_e32 v9, 0xfffffc10, v8
	v_cvt_f32_f16_e32 v1, v1
	v_or_b32_e32 v7, v10, v7
	v_lshl_or_b32 v8, v9, 12, v5
	v_cmp_gt_i32_e32 vcc, 1, v9
	v_cndmask_b32_e32 v7, v8, v7, vcc
	v_and_b32_e32 v8, 7, v7
	v_cmp_lt_i32_e32 vcc, 5, v8
	v_cmp_eq_u32_e64 s[0:1], 3, v8
	v_lshrrev_b32_e32 v10, 2, v7
	v_cvt_f64_f32_e32 v[7:8], v1
	s_or_b64 vcc, s[0:1], vcc
	v_addc_co_u32_e32 v1, vcc, 0, v10, vcc
	v_mul_f64 v[7:8], v[7:8], s[2:3]
	v_cmp_gt_i32_e32 vcc, 31, v9
	v_cndmask_b32_e32 v1, v0, v1, vcc
	v_cmp_ne_u32_e32 vcc, 0, v5
	v_cndmask_b32_e64 v5, 0, 1, vcc
	v_lshl_or_b32 v5, v5, 9, v0
	v_cmp_eq_u32_e32 vcc, s8, v9
	v_cndmask_b32_e32 v1, v1, v5, vcc
	v_lshrrev_b32_e32 v5, 16, v6
	v_and_or_b32 v1, v5, s9, v1
	v_and_or_b32 v5, v8, s7, v7
	v_cmp_ne_u32_e32 vcc, 0, v5
	v_cndmask_b32_e64 v5, 0, 1, vcc
	v_lshrrev_b32_e32 v6, 8, v8
	v_bfe_u32 v7, v8, 20, 11
	v_and_or_b32 v5, v6, s6, v5
	v_sub_u32_e32 v9, 0x3f1, v7
	v_or_b32_e32 v6, 0x1000, v5
	v_med3_i32 v9, v9, 0, 13
	v_lshrrev_b32_e32 v10, v9, v6
	v_lshlrev_b32_e32 v9, v9, v10
	v_cmp_ne_u32_e32 vcc, v9, v6
	v_cndmask_b32_e64 v6, 0, 1, vcc
	v_add_u32_e32 v7, 0xfffffc10, v7
	v_or_b32_e32 v6, v10, v6
	v_lshl_or_b32 v9, v7, 12, v5
	v_cmp_gt_i32_e32 vcc, 1, v7
	v_cndmask_b32_e32 v6, v9, v6, vcc
	v_and_b32_e32 v9, 7, v6
	v_cmp_lt_i32_e32 vcc, 5, v9
	v_cmp_eq_u32_e64 s[0:1], 3, v9
	v_lshrrev_b32_e32 v6, 2, v6
	s_or_b64 vcc, s[0:1], vcc
	v_addc_co_u32_e32 v6, vcc, 0, v6, vcc
	v_cmp_gt_i32_e32 vcc, 31, v7
	v_cndmask_b32_e32 v6, v0, v6, vcc
	v_cmp_ne_u32_e32 vcc, 0, v5
	v_cndmask_b32_e64 v5, 0, 1, vcc
	v_lshl_or_b32 v0, v5, 9, v0
	v_cmp_eq_u32_e32 vcc, s8, v7
	v_cndmask_b32_e32 v0, v6, v0, vcc
	v_lshrrev_b32_e32 v5, 16, v8
	v_and_or_b32 v0, v5, s9, v0
	v_and_b32_e32 v1, 0xffff, v1
	v_lshl_or_b32 v5, v0, 16, v1
	v_add_co_u32_e32 v0, vcc, s4, v3
	v_addc_co_u32_e32 v1, vcc, v4, v2, vcc
	global_store_dword v[0:1], v5, off
.LBB0_18:
	s_endpgm
	.section	.rodata,"a",@progbits
	.p2align	6, 0x0
	.amdhsa_kernel bluestein_single_fwd_len352_dim1_half_op_CI_CI
		.amdhsa_group_segment_fixed_size 2816
		.amdhsa_private_segment_fixed_size 0
		.amdhsa_kernarg_size 104
		.amdhsa_user_sgpr_count 6
		.amdhsa_user_sgpr_private_segment_buffer 1
		.amdhsa_user_sgpr_dispatch_ptr 0
		.amdhsa_user_sgpr_queue_ptr 0
		.amdhsa_user_sgpr_kernarg_segment_ptr 1
		.amdhsa_user_sgpr_dispatch_id 0
		.amdhsa_user_sgpr_flat_scratch_init 0
		.amdhsa_user_sgpr_private_segment_size 0
		.amdhsa_uses_dynamic_stack 0
		.amdhsa_system_sgpr_private_segment_wavefront_offset 0
		.amdhsa_system_sgpr_workgroup_id_x 1
		.amdhsa_system_sgpr_workgroup_id_y 0
		.amdhsa_system_sgpr_workgroup_id_z 0
		.amdhsa_system_sgpr_workgroup_info 0
		.amdhsa_system_vgpr_workitem_id 0
		.amdhsa_next_free_vgpr 110
		.amdhsa_next_free_sgpr 24
		.amdhsa_reserve_vcc 1
		.amdhsa_reserve_flat_scratch 0
		.amdhsa_float_round_mode_32 0
		.amdhsa_float_round_mode_16_64 0
		.amdhsa_float_denorm_mode_32 3
		.amdhsa_float_denorm_mode_16_64 3
		.amdhsa_dx10_clamp 1
		.amdhsa_ieee_mode 1
		.amdhsa_fp16_overflow 0
		.amdhsa_exception_fp_ieee_invalid_op 0
		.amdhsa_exception_fp_denorm_src 0
		.amdhsa_exception_fp_ieee_div_zero 0
		.amdhsa_exception_fp_ieee_overflow 0
		.amdhsa_exception_fp_ieee_underflow 0
		.amdhsa_exception_fp_ieee_inexact 0
		.amdhsa_exception_int_div_zero 0
	.end_amdhsa_kernel
	.text
.Lfunc_end0:
	.size	bluestein_single_fwd_len352_dim1_half_op_CI_CI, .Lfunc_end0-bluestein_single_fwd_len352_dim1_half_op_CI_CI
                                        ; -- End function
	.section	.AMDGPU.csdata,"",@progbits
; Kernel info:
; codeLenInByte = 17364
; NumSgprs: 28
; NumVgprs: 110
; ScratchSize: 0
; MemoryBound: 0
; FloatMode: 240
; IeeeMode: 1
; LDSByteSize: 2816 bytes/workgroup (compile time only)
; SGPRBlocks: 3
; VGPRBlocks: 27
; NumSGPRsForWavesPerEU: 28
; NumVGPRsForWavesPerEU: 110
; Occupancy: 2
; WaveLimiterHint : 1
; COMPUTE_PGM_RSRC2:SCRATCH_EN: 0
; COMPUTE_PGM_RSRC2:USER_SGPR: 6
; COMPUTE_PGM_RSRC2:TRAP_HANDLER: 0
; COMPUTE_PGM_RSRC2:TGID_X_EN: 1
; COMPUTE_PGM_RSRC2:TGID_Y_EN: 0
; COMPUTE_PGM_RSRC2:TGID_Z_EN: 0
; COMPUTE_PGM_RSRC2:TIDIG_COMP_CNT: 0
	.type	__hip_cuid_7679e3595adbe7b7,@object ; @__hip_cuid_7679e3595adbe7b7
	.section	.bss,"aw",@nobits
	.globl	__hip_cuid_7679e3595adbe7b7
__hip_cuid_7679e3595adbe7b7:
	.byte	0                               ; 0x0
	.size	__hip_cuid_7679e3595adbe7b7, 1

	.ident	"AMD clang version 19.0.0git (https://github.com/RadeonOpenCompute/llvm-project roc-6.4.0 25133 c7fe45cf4b819c5991fe208aaa96edf142730f1d)"
	.section	".note.GNU-stack","",@progbits
	.addrsig
	.addrsig_sym __hip_cuid_7679e3595adbe7b7
	.amdgpu_metadata
---
amdhsa.kernels:
  - .args:
      - .actual_access:  read_only
        .address_space:  global
        .offset:         0
        .size:           8
        .value_kind:     global_buffer
      - .actual_access:  read_only
        .address_space:  global
        .offset:         8
        .size:           8
        .value_kind:     global_buffer
      - .actual_access:  read_only
        .address_space:  global
        .offset:         16
        .size:           8
        .value_kind:     global_buffer
      - .actual_access:  read_only
        .address_space:  global
        .offset:         24
        .size:           8
        .value_kind:     global_buffer
      - .actual_access:  read_only
        .address_space:  global
        .offset:         32
        .size:           8
        .value_kind:     global_buffer
      - .offset:         40
        .size:           8
        .value_kind:     by_value
      - .address_space:  global
        .offset:         48
        .size:           8
        .value_kind:     global_buffer
      - .address_space:  global
        .offset:         56
        .size:           8
        .value_kind:     global_buffer
      - .address_space:  global
        .offset:         64
        .size:           8
        .value_kind:     global_buffer
      - .address_space:  global
        .offset:         72
        .size:           8
        .value_kind:     global_buffer
      - .offset:         80
        .size:           4
        .value_kind:     by_value
      - .address_space:  global
        .offset:         88
        .size:           8
        .value_kind:     global_buffer
      - .address_space:  global
        .offset:         96
        .size:           8
        .value_kind:     global_buffer
    .group_segment_fixed_size: 2816
    .kernarg_segment_align: 8
    .kernarg_segment_size: 104
    .language:       OpenCL C
    .language_version:
      - 2
      - 0
    .max_flat_workgroup_size: 64
    .name:           bluestein_single_fwd_len352_dim1_half_op_CI_CI
    .private_segment_fixed_size: 0
    .sgpr_count:     28
    .sgpr_spill_count: 0
    .symbol:         bluestein_single_fwd_len352_dim1_half_op_CI_CI.kd
    .uniform_work_group_size: 1
    .uses_dynamic_stack: false
    .vgpr_count:     110
    .vgpr_spill_count: 0
    .wavefront_size: 64
amdhsa.target:   amdgcn-amd-amdhsa--gfx906
amdhsa.version:
  - 1
  - 2
...

	.end_amdgpu_metadata
